;; amdgpu-corpus repo=ROCm/rocSOLVER kind=compiled arch=gfx950 opt=O3
	.amdgcn_target "amdgcn-amd-amdhsa--gfx950"
	.amdhsa_code_object_version 6
	.section	.text._ZN9rocsolver6v33100L22larf_left_kernel_smallILi64E19rocblas_complex_numIfEiPS3_EEvT1_S5_T2_lS5_lPKT0_lS6_lS5_l,"axG",@progbits,_ZN9rocsolver6v33100L22larf_left_kernel_smallILi64E19rocblas_complex_numIfEiPS3_EEvT1_S5_T2_lS5_lPKT0_lS6_lS5_l,comdat
	.globl	_ZN9rocsolver6v33100L22larf_left_kernel_smallILi64E19rocblas_complex_numIfEiPS3_EEvT1_S5_T2_lS5_lPKT0_lS6_lS5_l ; -- Begin function _ZN9rocsolver6v33100L22larf_left_kernel_smallILi64E19rocblas_complex_numIfEiPS3_EEvT1_S5_T2_lS5_lPKT0_lS6_lS5_l
	.p2align	8
	.type	_ZN9rocsolver6v33100L22larf_left_kernel_smallILi64E19rocblas_complex_numIfEiPS3_EEvT1_S5_T2_lS5_lPKT0_lS6_lS5_l,@function
_ZN9rocsolver6v33100L22larf_left_kernel_smallILi64E19rocblas_complex_numIfEiPS3_EEvT1_S5_T2_lS5_lPKT0_lS6_lS5_l: ; @_ZN9rocsolver6v33100L22larf_left_kernel_smallILi64E19rocblas_complex_numIfEiPS3_EEvT1_S5_T2_lS5_lPKT0_lS6_lS5_l
; %bb.0:
	s_load_dwordx2 s[20:21], s[0:1], 0x0
	s_load_dwordx8 s[12:19], s[0:1], 0x20
	s_load_dwordx2 s[4:5], s[0:1], 0x40
	s_ashr_i32 s22, s2, 31
	v_lshlrev_b32_e32 v2, 3, v0
	s_waitcnt lgkmcnt(0)
	v_cmp_gt_i32_e64 s[10:11], s20, v0
	s_and_saveexec_b64 s[6:7], s[10:11]
	s_cbranch_execz .LBB0_3
; %bb.1:
	s_load_dwordx4 s[24:27], s[0:1], 0x8
	s_load_dword s23, s[0:1], 0x18
	s_mul_i32 s8, s12, s22
	s_mul_hi_u32 s9, s12, s2
	s_add_i32 s8, s9, s8
	s_mul_i32 s9, s13, s2
	s_add_i32 s9, s8, s9
	s_mul_i32 s8, s12, s2
	s_lshl_b64 s[8:9], s[8:9], 3
	s_waitcnt lgkmcnt(0)
	s_add_u32 s12, s24, s8
	s_addc_u32 s13, s25, s9
	s_lshl_b64 s[8:9], s[26:27], 3
	s_add_u32 s8, s12, s8
	s_addc_u32 s9, s13, s9
	s_sub_i32 s12, 1, s20
	s_mul_i32 s12, s23, s12
	s_cmp_lt_i32 s23, 1
	s_cselect_b32 s12, s12, 0
	v_mul_lo_u32 v1, v0, s23
	v_add_u32_e32 v4, s12, v1
	s_lshl_b32 s23, s23, 6
	v_lshlrev_b32_e32 v1, 3, v0
	s_mov_b64 s[12:13], 0
	v_mov_b32_e32 v3, v0
.LBB0_2:                                ; =>This Inner Loop Header: Depth=1
	v_ashrrev_i32_e32 v5, 31, v4
	v_lshl_add_u64 v[6:7], v[4:5], 3, s[8:9]
	global_load_dwordx2 v[6:7], v[6:7], off
	v_add_u32_e32 v3, 64, v3
	v_cmp_le_i32_e32 vcc, s20, v3
	v_add_u32_e32 v4, s23, v4
	s_or_b64 s[12:13], vcc, s[12:13]
	s_waitcnt vmcnt(0)
	ds_write_b64 v1, v[6:7]
	v_add_u32_e32 v1, 0x200, v1
	s_andn2_b64 exec, exec, s[12:13]
	s_cbranch_execnz .LBB0_2
.LBB0_3:
	s_or_b64 exec, exec, s[6:7]
	s_cmp_ge_i32 s3, s21
	s_waitcnt lgkmcnt(0)
	; wave barrier
	s_cbranch_scc1 .LBB0_35
; %bb.4:
	s_load_dwordx2 s[6:7], s[0:1], 0x50
	s_load_dword s33, s[0:1], 0x48
	v_xad_u32 v1, v0, -1, s20
	v_lshrrev_b32_e32 v3, 6, v1
	v_add_u32_e32 v4, 1, v3
	s_waitcnt lgkmcnt(0)
	s_mul_i32 s1, s6, s22
	s_mul_hi_u32 s8, s6, s2
	s_mul_i32 s7, s7, s2
	s_add_i32 s1, s8, s1
	s_mul_i32 s0, s6, s2
	s_add_i32 s1, s1, s7
	s_lshl_b64 s[24:25], s[0:1], 3
	s_add_u32 s0, s18, s24
	s_addc_u32 s1, s19, s25
	s_lshl_b64 s[26:27], s[4:5], 3
	s_add_u32 s12, s0, s26
	s_addc_u32 s13, s1, s27
	s_mul_i32 s0, s16, s22
	s_mul_hi_u32 s1, s16, s2
	s_add_i32 s0, s1, s0
	s_mul_i32 s1, s17, s2
	s_add_i32 s1, s0, s1
	s_mul_i32 s0, s16, s2
	s_lshl_b64 s[0:1], s[0:1], 3
	s_add_u32 s14, s14, s0
	s_addc_u32 s15, s15, s1
	s_cmp_gt_i32 s20, 1
	s_cselect_b64 s[16:17], -1, 0
	s_add_u32 s2, s24, s26
	v_add_u32_e32 v3, -1, v3
	v_and_b32_e32 v7, 0x7fffffe, v4
	s_addc_u32 s24, s25, s27
	v_lshrrev_b32_e32 v6, 1, v3
	v_cmp_ne_u32_e64 s[8:9], v4, v7
	v_mov_b32_e32 v4, 0
	s_add_u32 s18, s18, s2
	v_add_u32_e32 v6, 1, v6
	v_cmp_lt_u32_e64 s[4:5], 5, v3
	v_mov_b32_e32 v3, v4
	s_addc_u32 s19, s19, s24
	v_lshrrev_b32_e32 v5, 3, v0
	v_lshl_or_b32 v16, v7, 6, v0
	v_and_b32_e32 v17, 3, v6
	v_and_b32_e32 v18, -4, v6
	v_lshl_add_u64 v[6:7], s[18:19], 0, v[2:3]
	v_mbcnt_lo_u32_b32 v3, -1, 0
	v_mbcnt_hi_u32_b32 v3, -1, v3
	v_or_b32_e32 v20, 0x4000, v5
	v_mov_b32_e32 v5, 0x80
	v_cmp_eq_u32_e64 s[22:23], 0, v0
	v_cmp_lt_u32_e64 s[0:1], 63, v1
	v_or_b32_e32 v1, 64, v0
	v_cmp_ne_u32_e64 s[6:7], 0, v17
	s_mul_i32 s24, s3, s33
	s_lshl_b32 s2, s33, 6
	s_mov_b64 s[26:27], 0x200
	v_and_b32_e32 v19, 63, v3
	v_lshl_or_b32 v21, v3, 2, v5
	v_lshlrev_b32_e32 v22, 3, v16
	s_branch .LBB0_6
.LBB0_5:                                ;   in Loop: Header=BB0_6 Depth=1
	s_or_b64 exec, exec, s[30:31]
	s_add_i32 s3, s3, 64
	s_add_i32 s24, s24, s2
	s_cmp_ge_i32 s3, s21
	s_cbranch_scc1 .LBB0_35
.LBB0_6:                                ; =>This Loop Header: Depth=1
                                        ;     Child Loop BB0_8 Depth 2
                                        ;     Child Loop BB0_24 Depth 2
	;; [unrolled: 1-line block ×4, first 2 shown]
	s_ashr_i32 s25, s24, 31
	v_mov_b32_e32 v5, v4
	s_lshl_b64 s[28:29], s[24:25], 3
	v_mov_b64_e32 v[8:9], v[4:5]
	s_and_saveexec_b64 s[30:31], s[10:11]
	s_cbranch_execz .LBB0_10
; %bb.7:                                ;   in Loop: Header=BB0_6 Depth=1
	v_mov_b32_e32 v8, 0
	v_lshl_add_u64 v[10:11], v[6:7], 0, s[28:29]
	s_mov_b64 s[34:35], 0
	v_mov_b32_e32 v5, v2
	v_mov_b32_e32 v12, v0
	;; [unrolled: 1-line block ×3, first 2 shown]
.LBB0_8:                                ;   Parent Loop BB0_6 Depth=1
                                        ; =>  This Inner Loop Header: Depth=2
	global_load_dwordx2 v[14:15], v[10:11], off
	ds_read_b64 v[24:25], v5
	v_add_u32_e32 v12, 64, v12
	v_cmp_le_i32_e32 vcc, s20, v12
	v_add_u32_e32 v5, 0x200, v5
	v_lshl_add_u64 v[10:11], v[10:11], 0, s[26:27]
	s_waitcnt lgkmcnt(0)
	v_mov_b32_e32 v26, v25
	s_or_b64 s[34:35], vcc, s[34:35]
	s_waitcnt vmcnt(0)
	v_pk_mul_f32 v[28:29], v[14:15], v[24:25] op_sel_hi:[1,0]
	s_nop 0
	v_pk_fma_f32 v[26:27], v[14:15], v[26:27], v[28:29] op_sel:[1,0,0] op_sel_hi:[0,1,1]
	v_pk_fma_f32 v[14:15], v[14:15], v[24:25], v[28:29] op_sel:[1,1,0] op_sel_hi:[0,1,1] neg_lo:[0,0,1] neg_hi:[0,0,1]
	v_mov_b32_e32 v27, v15
	v_pk_add_f32 v[8:9], v[8:9], v[26:27]
	s_andn2_b64 exec, exec, s[34:35]
	s_cbranch_execnz .LBB0_8
; %bb.9:                                ;   in Loop: Header=BB0_6 Depth=1
	s_or_b64 exec, exec, s[34:35]
.LBB0_10:                               ;   in Loop: Header=BB0_6 Depth=1
	s_or_b64 exec, exec, s[30:31]
	s_and_b64 vcc, exec, s[16:17]
	s_cbranch_vccz .LBB0_15
; %bb.11:                               ;   in Loop: Header=BB0_6 Depth=1
	v_cmp_ne_u32_e32 vcc, 63, v19
	s_nop 1
	v_addc_co_u32_e32 v5, vcc, 0, v3, vcc
	v_lshlrev_b32_e32 v5, 2, v5
	ds_bpermute_b32 v10, v5, v8
	ds_bpermute_b32 v11, v5, v9
	v_cmp_gt_u32_e32 vcc, 62, v19
	s_waitcnt lgkmcnt(0)
	v_pk_add_f32 v[10:11], v[8:9], v[10:11]
	v_cndmask_b32_e64 v5, 0, 2, vcc
	v_add_lshl_u32 v5, v5, v3, 2
	ds_bpermute_b32 v12, v5, v10
	ds_bpermute_b32 v13, v5, v11
	v_cmp_gt_u32_e32 vcc, 60, v19
	s_waitcnt lgkmcnt(0)
	v_pk_add_f32 v[10:11], v[10:11], v[12:13]
	v_cndmask_b32_e64 v5, 0, 4, vcc
	v_add_lshl_u32 v5, v5, v3, 2
	;; [unrolled: 7-line block ×4, first 2 shown]
	ds_bpermute_b32 v12, v5, v10
	ds_bpermute_b32 v13, v5, v11
	s_waitcnt lgkmcnt(0)
	v_pk_add_f32 v[10:11], v[10:11], v[12:13]
	ds_bpermute_b32 v12, v21, v10
	ds_bpermute_b32 v13, v21, v11
	s_waitcnt lgkmcnt(0)
	v_pk_add_f32 v[10:11], v[10:11], v[12:13]
	s_and_saveexec_b64 s[30:31], s[22:23]
; %bb.12:                               ;   in Loop: Header=BB0_6 Depth=1
	ds_write2_b32 v20, v10, v11 offset1:1
; %bb.13:                               ;   in Loop: Header=BB0_6 Depth=1
	s_or_b64 exec, exec, s[30:31]
	s_waitcnt lgkmcnt(0)
	; wave barrier
	s_mov_b64 s[30:31], s[22:23]
.LBB0_14:                               ;   in Loop: Header=BB0_6 Depth=1
	v_mov_b64_e32 v[8:9], v[10:11]
	s_and_saveexec_b64 s[34:35], s[30:31]
	s_cbranch_execnz .LBB0_17
	s_branch .LBB0_18
.LBB0_15:                               ;   in Loop: Header=BB0_6 Depth=1
	s_mov_b64 s[30:31], 0
                                        ; implicit-def: $vgpr10_vgpr11
	s_cbranch_execz .LBB0_14
; %bb.16:                               ;   in Loop: Header=BB0_6 Depth=1
	s_andn2_b64 s[30:31], s[30:31], exec
	s_and_b64 s[34:35], s[22:23], exec
	s_or_b64 s[30:31], s[30:31], s[34:35]
	s_and_saveexec_b64 s[34:35], s[30:31]
.LBB0_17:                               ;   in Loop: Header=BB0_6 Depth=1
	ds_write_b64 v4, v[8:9] offset:16384
.LBB0_18:                               ;   in Loop: Header=BB0_6 Depth=1
	s_or_b64 exec, exec, s[34:35]
	s_waitcnt lgkmcnt(0)
	; wave barrier
	s_and_saveexec_b64 s[30:31], s[10:11]
	s_cbranch_execz .LBB0_5
; %bb.19:                               ;   in Loop: Header=BB0_6 Depth=1
	global_load_dwordx2 v[10:11], v4, s[14:15]
	ds_read_b64 v[8:9], v4 offset:16384
	s_mov_b64 s[36:37], 0
	s_waitcnt vmcnt(0) lgkmcnt(0)
	v_mul_f32_e32 v5, v11, v9
	v_mul_f32_e32 v11, v11, v8
	v_fma_f32 v8, v8, -v10, -v5
	v_fma_f32 v10, v10, v9, -v11
                                        ; implicit-def: $vgpr5
	s_and_saveexec_b64 s[34:35], s[0:1]
	s_xor_b64 s[34:35], exec, s[34:35]
	s_cbranch_execnz .LBB0_22
; %bb.20:                               ;   in Loop: Header=BB0_6 Depth=1
	s_or_saveexec_b64 s[34:35], s[34:35]
	v_mov_b32_e32 v12, v16
	s_xor_b64 exec, exec, s[34:35]
	s_cbranch_execnz .LBB0_32
.LBB0_21:                               ;   in Loop: Header=BB0_6 Depth=1
	s_or_b64 exec, exec, s[34:35]
	s_and_b64 exec, exec, s[36:37]
	s_cbranch_execz .LBB0_5
	s_branch .LBB0_33
.LBB0_22:                               ;   in Loop: Header=BB0_6 Depth=1
	s_mul_i32 s25, s3, s33
	v_mov_b32_e32 v9, v8
	v_mov_b32_e32 v11, v10
	;; [unrolled: 1-line block ×3, first 2 shown]
	v_mov_b64_e32 v[12:13], v[0:1]
	s_and_saveexec_b64 s[36:37], s[4:5]
	s_cbranch_execz .LBB0_26
; %bb.23:                               ;   in Loop: Header=BB0_6 Depth=1
	s_add_i32 s40, s25, 0x80
	s_add_i32 s42, s25, 0x100
	;; [unrolled: 1-line block ×3, first 2 shown]
	s_mov_b32 s41, s40
	s_mov_b32 s43, s42
	;; [unrolled: 1-line block ×4, first 2 shown]
	s_mov_b64 s[38:39], 0
	v_mov_b32_e32 v5, v18
	v_mov_b32_e32 v14, v2
	v_mov_b64_e32 v[12:13], v[0:1]
.LBB0_24:                               ;   Parent Loop BB0_6 Depth=1
                                        ; =>  This Inner Loop Header: Depth=2
	v_add_u32_e32 v24, s25, v12
	v_add_u32_e32 v26, s25, v13
	v_ashrrev_i32_e32 v25, 31, v24
	v_ashrrev_i32_e32 v27, 31, v26
	v_lshl_add_u64 v[32:33], v[24:25], 3, s[12:13]
	v_lshl_add_u64 v[34:35], v[26:27], 3, s[12:13]
	global_load_dwordx2 v[44:45], v[32:33], off
	global_load_dwordx2 v[36:37], v[34:35], off
	ds_read2st64_b64 v[24:27], v14 offset1:1
	ds_read2st64_b64 v[28:31], v14 offset0:2 offset1:3
	v_add_u32_e32 v38, s40, v12
	v_add_u32_e32 v40, s41, v13
	v_ashrrev_i32_e32 v39, 31, v38
	s_waitcnt lgkmcnt(1)
	v_mov_b32_e32 v43, v26
	v_mov_b32_e32 v26, v25
	;; [unrolled: 1-line block ×3, first 2 shown]
	v_pk_mul_f32 v[24:25], v[10:11], v[26:27]
	v_pk_mul_f32 v[26:27], v[8:9], v[26:27]
	v_pk_fma_f32 v[24:25], v[8:9], v[42:43], v[24:25] neg_lo:[0,0,1] neg_hi:[0,0,1]
	v_pk_fma_f32 v[26:27], v[10:11], v[42:43], v[26:27]
	v_ashrrev_i32_e32 v41, 31, v40
	v_lshl_add_u64 v[38:39], v[38:39], 3, s[12:13]
	v_lshl_add_u64 v[40:41], v[40:41], 3, s[12:13]
	v_add_u32_e32 v5, -4, v5
	s_add_i32 s46, s46, 8
	v_cmp_eq_u32_e32 vcc, 0, v5
	v_mov_b32_e32 v15, s46
	s_or_b64 s[38:39], vcc, s[38:39]
	s_waitcnt vmcnt(1)
	v_mov_b32_e32 v42, v44
	s_waitcnt vmcnt(0)
	v_mov_b32_e32 v43, v36
	v_mov_b32_e32 v36, v45
	v_pk_add_f32 v[24:25], v[42:43], v[24:25]
	v_pk_add_f32 v[26:27], v[26:27], v[36:37]
	v_mov_b32_e32 v36, v24
	v_mov_b32_e32 v37, v26
	;; [unrolled: 1-line block ×3, first 2 shown]
	global_store_dwordx2 v[32:33], v[36:37], off
	global_store_dwordx2 v[34:35], v[26:27], off
	global_load_dwordx2 v[36:37], v[38:39], off
	s_nop 0
	global_load_dwordx2 v[24:25], v[40:41], off
	v_add_u32_e32 v26, s42, v12
	v_ashrrev_i32_e32 v27, 31, v26
	v_lshl_add_u64 v[34:35], v[26:27], 3, s[12:13]
	s_waitcnt lgkmcnt(0)
	v_mov_b32_e32 v27, v30
	v_mov_b32_e32 v30, v29
	;; [unrolled: 1-line block ×3, first 2 shown]
	v_pk_mul_f32 v[28:29], v[10:11], v[30:31]
	v_pk_mul_f32 v[30:31], v[8:9], v[30:31]
	v_pk_fma_f32 v[28:29], v[8:9], v[26:27], v[28:29] neg_lo:[0,0,1] neg_hi:[0,0,1]
	v_pk_fma_f32 v[26:27], v[10:11], v[26:27], v[30:31]
	v_add_u32_e32 v32, s43, v13
	v_ashrrev_i32_e32 v33, 31, v32
	v_lshl_add_u64 v[32:33], v[32:33], 3, s[12:13]
	s_waitcnt vmcnt(1)
	v_mov_b32_e32 v30, v36
	s_waitcnt vmcnt(0)
	v_mov_b32_e32 v31, v24
	v_mov_b32_e32 v24, v37
	v_pk_add_f32 v[28:29], v[30:31], v[28:29]
	v_pk_add_f32 v[24:25], v[26:27], v[24:25]
	v_mov_b32_e32 v26, v28
	v_mov_b32_e32 v27, v24
	;; [unrolled: 1-line block ×3, first 2 shown]
	global_store_dwordx2 v[38:39], v[26:27], off
	global_store_dwordx2 v[40:41], v[24:25], off
	global_load_dwordx2 v[44:45], v[34:35], off
	global_load_dwordx2 v[36:37], v[32:33], off
	ds_read2st64_b64 v[24:27], v14 offset0:4 offset1:5
	ds_read2st64_b64 v[28:31], v14 offset0:6 offset1:7
	v_add_u32_e32 v38, s44, v12
	v_add_u32_e32 v40, s45, v13
	v_ashrrev_i32_e32 v39, 31, v38
	s_waitcnt lgkmcnt(1)
	v_mov_b32_e32 v43, v26
	v_mov_b32_e32 v26, v25
	;; [unrolled: 1-line block ×3, first 2 shown]
	v_pk_mul_f32 v[24:25], v[10:11], v[26:27]
	v_pk_mul_f32 v[26:27], v[8:9], v[26:27]
	v_pk_fma_f32 v[24:25], v[8:9], v[42:43], v[24:25] neg_lo:[0,0,1] neg_hi:[0,0,1]
	v_pk_fma_f32 v[26:27], v[10:11], v[42:43], v[26:27]
	v_ashrrev_i32_e32 v41, 31, v40
	v_lshl_add_u64 v[38:39], v[38:39], 3, s[12:13]
	v_lshl_add_u64 v[40:41], v[40:41], 3, s[12:13]
	v_add_u32_e32 v13, 0x200, v13
	v_add_u32_e32 v12, 0x200, v12
	;; [unrolled: 1-line block ×3, first 2 shown]
	s_waitcnt vmcnt(1)
	v_mov_b32_e32 v42, v44
	s_waitcnt vmcnt(0)
	v_mov_b32_e32 v43, v36
	v_mov_b32_e32 v36, v45
	v_pk_add_f32 v[24:25], v[42:43], v[24:25]
	v_pk_add_f32 v[26:27], v[26:27], v[36:37]
	v_mov_b32_e32 v36, v24
	v_mov_b32_e32 v37, v26
	;; [unrolled: 1-line block ×3, first 2 shown]
	global_store_dwordx2 v[34:35], v[36:37], off
	global_store_dwordx2 v[32:33], v[26:27], off
	global_load_dwordx2 v[32:33], v[38:39], off
	s_nop 0
	global_load_dwordx2 v[24:25], v[40:41], off
	s_waitcnt lgkmcnt(0)
	v_mov_b32_e32 v27, v30
	v_mov_b32_e32 v30, v29
	;; [unrolled: 1-line block ×3, first 2 shown]
	v_pk_mul_f32 v[28:29], v[10:11], v[30:31]
	v_pk_mul_f32 v[30:31], v[8:9], v[30:31]
	v_pk_fma_f32 v[28:29], v[8:9], v[26:27], v[28:29] neg_lo:[0,0,1] neg_hi:[0,0,1]
	v_pk_fma_f32 v[26:27], v[10:11], v[26:27], v[30:31]
	s_waitcnt vmcnt(1)
	v_mov_b32_e32 v30, v32
	s_waitcnt vmcnt(0)
	v_mov_b32_e32 v31, v24
	v_mov_b32_e32 v24, v33
	v_pk_add_f32 v[28:29], v[30:31], v[28:29]
	v_pk_add_f32 v[24:25], v[26:27], v[24:25]
	v_mov_b32_e32 v26, v28
	v_mov_b32_e32 v27, v24
	;; [unrolled: 1-line block ×3, first 2 shown]
	global_store_dwordx2 v[38:39], v[26:27], off
	global_store_dwordx2 v[40:41], v[24:25], off
	s_andn2_b64 exec, exec, s[38:39]
	s_cbranch_execnz .LBB0_24
; %bb.25:                               ;   in Loop: Header=BB0_6 Depth=1
	s_or_b64 exec, exec, s[38:39]
.LBB0_26:                               ;   in Loop: Header=BB0_6 Depth=1
	s_or_b64 exec, exec, s[36:37]
	s_and_saveexec_b64 s[36:37], s[6:7]
	s_cbranch_execz .LBB0_29
; %bb.27:                               ;   in Loop: Header=BB0_6 Depth=1
	v_lshl_or_b32 v5, v15, 9, v2
	s_mov_b64 s[38:39], 0
	v_mov_b32_e32 v14, v17
.LBB0_28:                               ;   Parent Loop BB0_6 Depth=1
                                        ; =>  This Inner Loop Header: Depth=2
	v_add_u32_e32 v24, s25, v12
	v_add_u32_e32 v26, s25, v13
	v_ashrrev_i32_e32 v25, 31, v24
	v_ashrrev_i32_e32 v27, 31, v26
	v_lshl_add_u64 v[28:29], v[24:25], 3, s[12:13]
	v_lshl_add_u64 v[30:31], v[26:27], 3, s[12:13]
	global_load_dwordx2 v[36:37], v[28:29], off
	global_load_dwordx2 v[32:33], v[30:31], off
	ds_read2st64_b64 v[24:27], v5 offset1:1
	v_add_u32_e32 v14, -1, v14
	v_cmp_eq_u32_e32 vcc, 0, v14
	v_add_u32_e32 v13, 0x80, v13
	v_add_u32_e32 v12, 0x80, v12
	s_waitcnt lgkmcnt(0)
	v_mov_b32_e32 v35, v26
	v_mov_b32_e32 v26, v25
	;; [unrolled: 1-line block ×3, first 2 shown]
	v_pk_mul_f32 v[24:25], v[10:11], v[26:27]
	v_pk_mul_f32 v[26:27], v[8:9], v[26:27]
	v_pk_fma_f32 v[24:25], v[8:9], v[34:35], v[24:25] neg_lo:[0,0,1] neg_hi:[0,0,1]
	v_pk_fma_f32 v[26:27], v[10:11], v[34:35], v[26:27]
	v_add_u32_e32 v5, 0x400, v5
	s_or_b64 s[38:39], vcc, s[38:39]
	s_waitcnt vmcnt(1)
	v_mov_b32_e32 v34, v36
	s_waitcnt vmcnt(0)
	v_mov_b32_e32 v35, v32
	v_mov_b32_e32 v32, v37
	v_pk_add_f32 v[24:25], v[34:35], v[24:25]
	v_pk_add_f32 v[26:27], v[26:27], v[32:33]
	v_mov_b32_e32 v32, v24
	v_mov_b32_e32 v33, v26
	;; [unrolled: 1-line block ×3, first 2 shown]
	global_store_dwordx2 v[28:29], v[32:33], off
	global_store_dwordx2 v[30:31], v[26:27], off
	s_andn2_b64 exec, exec, s[38:39]
	s_cbranch_execnz .LBB0_28
.LBB0_29:                               ;   in Loop: Header=BB0_6 Depth=1
	s_or_b64 exec, exec, s[36:37]
	s_mov_b64 s[36:37], 0
	s_and_saveexec_b64 s[38:39], s[8:9]
	s_xor_b64 s[38:39], exec, s[38:39]
; %bb.30:                               ;   in Loop: Header=BB0_6 Depth=1
	s_mov_b64 s[36:37], exec
; %bb.31:                               ;   in Loop: Header=BB0_6 Depth=1
	s_or_b64 exec, exec, s[38:39]
	s_and_b64 s[36:37], s[36:37], exec
	v_mov_b32_e32 v5, v22
	s_or_saveexec_b64 s[34:35], s[34:35]
	v_mov_b32_e32 v12, v16
	s_xor_b64 exec, exec, s[34:35]
	s_cbranch_execz .LBB0_21
.LBB0_32:                               ;   in Loop: Header=BB0_6 Depth=1
	s_or_b64 s[36:37], s[36:37], exec
	v_mov_b32_e32 v12, v0
	v_mov_b32_e32 v5, v2
	s_or_b64 exec, exec, s[34:35]
	s_and_b64 exec, exec, s[36:37]
	s_cbranch_execz .LBB0_5
.LBB0_33:                               ;   in Loop: Header=BB0_6 Depth=1
	s_add_u32 s28, s18, s28
	v_ashrrev_i32_e32 v13, 31, v12
	s_addc_u32 s29, s19, s29
	v_mov_b32_e32 v11, v10
	v_mov_b32_e32 v9, v8
	v_lshl_add_u64 v[14:15], v[12:13], 3, s[28:29]
	s_mov_b64 s[28:29], 0
.LBB0_34:                               ;   Parent Loop BB0_6 Depth=1
                                        ; =>  This Inner Loop Header: Depth=2
	global_load_dwordx2 v[24:25], v[14:15], off
	ds_read_b64 v[26:27], v5
	v_add_u32_e32 v12, 64, v12
	v_cmp_le_i32_e32 vcc, s20, v12
	s_or_b64 s[28:29], vcc, s[28:29]
	v_add_u32_e32 v5, 0x200, v5
	s_waitcnt lgkmcnt(0)
	v_pk_mul_f32 v[28:29], v[10:11], v[26:27] op_sel:[0,1] op_sel_hi:[1,0]
	s_nop 0
	v_pk_fma_f32 v[30:31], v[8:9], v[26:27], v[28:29] neg_lo:[0,0,1] neg_hi:[0,0,1]
	v_pk_fma_f32 v[26:27], v[8:9], v[26:27], v[28:29]
	s_nop 0
	v_mov_b32_e32 v31, v27
	s_waitcnt vmcnt(0)
	v_pk_add_f32 v[24:25], v[24:25], v[30:31]
	global_store_dwordx2 v[14:15], v[24:25], off
	v_lshl_add_u64 v[14:15], v[14:15], 0, s[26:27]
	s_andn2_b64 exec, exec, s[28:29]
	s_cbranch_execnz .LBB0_34
	s_branch .LBB0_5
.LBB0_35:
	s_endpgm
	.section	.rodata,"a",@progbits
	.p2align	6, 0x0
	.amdhsa_kernel _ZN9rocsolver6v33100L22larf_left_kernel_smallILi64E19rocblas_complex_numIfEiPS3_EEvT1_S5_T2_lS5_lPKT0_lS6_lS5_l
		.amdhsa_group_segment_fixed_size 16896
		.amdhsa_private_segment_fixed_size 0
		.amdhsa_kernarg_size 88
		.amdhsa_user_sgpr_count 2
		.amdhsa_user_sgpr_dispatch_ptr 0
		.amdhsa_user_sgpr_queue_ptr 0
		.amdhsa_user_sgpr_kernarg_segment_ptr 1
		.amdhsa_user_sgpr_dispatch_id 0
		.amdhsa_user_sgpr_kernarg_preload_length 0
		.amdhsa_user_sgpr_kernarg_preload_offset 0
		.amdhsa_user_sgpr_private_segment_size 0
		.amdhsa_uses_dynamic_stack 0
		.amdhsa_enable_private_segment 0
		.amdhsa_system_sgpr_workgroup_id_x 1
		.amdhsa_system_sgpr_workgroup_id_y 1
		.amdhsa_system_sgpr_workgroup_id_z 0
		.amdhsa_system_sgpr_workgroup_info 0
		.amdhsa_system_vgpr_workitem_id 0
		.amdhsa_next_free_vgpr 129
		.amdhsa_next_free_sgpr 96
		.amdhsa_accum_offset 48
		.amdhsa_reserve_vcc 1
		.amdhsa_float_round_mode_32 0
		.amdhsa_float_round_mode_16_64 0
		.amdhsa_float_denorm_mode_32 3
		.amdhsa_float_denorm_mode_16_64 3
		.amdhsa_dx10_clamp 1
		.amdhsa_ieee_mode 1
		.amdhsa_fp16_overflow 0
		.amdhsa_tg_split 0
		.amdhsa_exception_fp_ieee_invalid_op 0
		.amdhsa_exception_fp_denorm_src 0
		.amdhsa_exception_fp_ieee_div_zero 0
		.amdhsa_exception_fp_ieee_overflow 0
		.amdhsa_exception_fp_ieee_underflow 0
		.amdhsa_exception_fp_ieee_inexact 0
		.amdhsa_exception_int_div_zero 0
	.end_amdhsa_kernel
	.section	.text._ZN9rocsolver6v33100L22larf_left_kernel_smallILi64E19rocblas_complex_numIfEiPS3_EEvT1_S5_T2_lS5_lPKT0_lS6_lS5_l,"axG",@progbits,_ZN9rocsolver6v33100L22larf_left_kernel_smallILi64E19rocblas_complex_numIfEiPS3_EEvT1_S5_T2_lS5_lPKT0_lS6_lS5_l,comdat
.Lfunc_end0:
	.size	_ZN9rocsolver6v33100L22larf_left_kernel_smallILi64E19rocblas_complex_numIfEiPS3_EEvT1_S5_T2_lS5_lPKT0_lS6_lS5_l, .Lfunc_end0-_ZN9rocsolver6v33100L22larf_left_kernel_smallILi64E19rocblas_complex_numIfEiPS3_EEvT1_S5_T2_lS5_lPKT0_lS6_lS5_l
                                        ; -- End function
	.set _ZN9rocsolver6v33100L22larf_left_kernel_smallILi64E19rocblas_complex_numIfEiPS3_EEvT1_S5_T2_lS5_lPKT0_lS6_lS5_l.num_vgpr, 46
	.set _ZN9rocsolver6v33100L22larf_left_kernel_smallILi64E19rocblas_complex_numIfEiPS3_EEvT1_S5_T2_lS5_lPKT0_lS6_lS5_l.num_agpr, 0
	.set _ZN9rocsolver6v33100L22larf_left_kernel_smallILi64E19rocblas_complex_numIfEiPS3_EEvT1_S5_T2_lS5_lPKT0_lS6_lS5_l.numbered_sgpr, 47
	.set _ZN9rocsolver6v33100L22larf_left_kernel_smallILi64E19rocblas_complex_numIfEiPS3_EEvT1_S5_T2_lS5_lPKT0_lS6_lS5_l.num_named_barrier, 0
	.set _ZN9rocsolver6v33100L22larf_left_kernel_smallILi64E19rocblas_complex_numIfEiPS3_EEvT1_S5_T2_lS5_lPKT0_lS6_lS5_l.private_seg_size, 0
	.set _ZN9rocsolver6v33100L22larf_left_kernel_smallILi64E19rocblas_complex_numIfEiPS3_EEvT1_S5_T2_lS5_lPKT0_lS6_lS5_l.uses_vcc, 1
	.set _ZN9rocsolver6v33100L22larf_left_kernel_smallILi64E19rocblas_complex_numIfEiPS3_EEvT1_S5_T2_lS5_lPKT0_lS6_lS5_l.uses_flat_scratch, 0
	.set _ZN9rocsolver6v33100L22larf_left_kernel_smallILi64E19rocblas_complex_numIfEiPS3_EEvT1_S5_T2_lS5_lPKT0_lS6_lS5_l.has_dyn_sized_stack, 0
	.set _ZN9rocsolver6v33100L22larf_left_kernel_smallILi64E19rocblas_complex_numIfEiPS3_EEvT1_S5_T2_lS5_lPKT0_lS6_lS5_l.has_recursion, 0
	.set _ZN9rocsolver6v33100L22larf_left_kernel_smallILi64E19rocblas_complex_numIfEiPS3_EEvT1_S5_T2_lS5_lPKT0_lS6_lS5_l.has_indirect_call, 0
	.section	.AMDGPU.csdata,"",@progbits
; Kernel info:
; codeLenInByte = 2476
; TotalNumSgprs: 53
; NumVgprs: 46
; NumAgprs: 0
; TotalNumVgprs: 46
; ScratchSize: 0
; MemoryBound: 0
; FloatMode: 240
; IeeeMode: 1
; LDSByteSize: 16896 bytes/workgroup (compile time only)
; SGPRBlocks: 12
; VGPRBlocks: 16
; NumSGPRsForWavesPerEU: 102
; NumVGPRsForWavesPerEU: 129
; AccumOffset: 48
; Occupancy: 3
; WaveLimiterHint : 0
; COMPUTE_PGM_RSRC2:SCRATCH_EN: 0
; COMPUTE_PGM_RSRC2:USER_SGPR: 2
; COMPUTE_PGM_RSRC2:TRAP_HANDLER: 0
; COMPUTE_PGM_RSRC2:TGID_X_EN: 1
; COMPUTE_PGM_RSRC2:TGID_Y_EN: 1
; COMPUTE_PGM_RSRC2:TGID_Z_EN: 0
; COMPUTE_PGM_RSRC2:TIDIG_COMP_CNT: 0
; COMPUTE_PGM_RSRC3_GFX90A:ACCUM_OFFSET: 11
; COMPUTE_PGM_RSRC3_GFX90A:TG_SPLIT: 0
	.section	.text._ZN9rocsolver6v33100L22larf_left_kernel_smallILi128E19rocblas_complex_numIfEiPS3_EEvT1_S5_T2_lS5_lPKT0_lS6_lS5_l,"axG",@progbits,_ZN9rocsolver6v33100L22larf_left_kernel_smallILi128E19rocblas_complex_numIfEiPS3_EEvT1_S5_T2_lS5_lPKT0_lS6_lS5_l,comdat
	.globl	_ZN9rocsolver6v33100L22larf_left_kernel_smallILi128E19rocblas_complex_numIfEiPS3_EEvT1_S5_T2_lS5_lPKT0_lS6_lS5_l ; -- Begin function _ZN9rocsolver6v33100L22larf_left_kernel_smallILi128E19rocblas_complex_numIfEiPS3_EEvT1_S5_T2_lS5_lPKT0_lS6_lS5_l
	.p2align	8
	.type	_ZN9rocsolver6v33100L22larf_left_kernel_smallILi128E19rocblas_complex_numIfEiPS3_EEvT1_S5_T2_lS5_lPKT0_lS6_lS5_l,@function
_ZN9rocsolver6v33100L22larf_left_kernel_smallILi128E19rocblas_complex_numIfEiPS3_EEvT1_S5_T2_lS5_lPKT0_lS6_lS5_l: ; @_ZN9rocsolver6v33100L22larf_left_kernel_smallILi128E19rocblas_complex_numIfEiPS3_EEvT1_S5_T2_lS5_lPKT0_lS6_lS5_l
; %bb.0:
	s_load_dwordx2 s[24:25], s[0:1], 0x0
	s_load_dwordx8 s[16:23], s[0:1], 0x20
	s_load_dwordx2 s[4:5], s[0:1], 0x40
	s_ashr_i32 s12, s2, 31
	v_lshlrev_b32_e32 v2, 3, v0
	s_waitcnt lgkmcnt(0)
	v_cmp_gt_i32_e64 s[14:15], s24, v0
	s_and_saveexec_b64 s[6:7], s[14:15]
	s_cbranch_execz .LBB1_3
; %bb.1:
	s_load_dwordx4 s[8:11], s[0:1], 0x8
	s_load_dword s13, s[0:1], 0x18
	s_mul_i32 s26, s16, s12
	s_mul_hi_u32 s27, s16, s2
	s_add_i32 s26, s27, s26
	s_mul_i32 s17, s17, s2
	s_add_i32 s17, s26, s17
	s_mul_i32 s16, s16, s2
	s_lshl_b64 s[16:17], s[16:17], 3
	s_waitcnt lgkmcnt(0)
	s_add_u32 s16, s8, s16
	s_addc_u32 s17, s9, s17
	s_lshl_b64 s[8:9], s[10:11], 3
	s_add_u32 s8, s16, s8
	s_addc_u32 s9, s17, s9
	s_sub_i32 s10, 1, s24
	s_mul_i32 s10, s13, s10
	s_cmp_lt_i32 s13, 1
	s_cselect_b32 s10, s10, 0
	v_mul_lo_u32 v1, v0, s13
	v_add_u32_e32 v4, s10, v1
	s_lshl_b32 s13, s13, 7
	v_lshlrev_b32_e32 v1, 3, v0
	s_mov_b64 s[10:11], 0
	v_mov_b32_e32 v3, v0
.LBB1_2:                                ; =>This Inner Loop Header: Depth=1
	v_ashrrev_i32_e32 v5, 31, v4
	v_lshl_add_u64 v[6:7], v[4:5], 3, s[8:9]
	global_load_dwordx2 v[6:7], v[6:7], off
	v_add_u32_e32 v3, 0x80, v3
	v_cmp_le_i32_e32 vcc, s24, v3
	v_add_u32_e32 v4, s13, v4
	s_or_b64 s[10:11], vcc, s[10:11]
	s_waitcnt vmcnt(0)
	ds_write_b64 v1, v[6:7]
	v_add_u32_e32 v1, 0x400, v1
	s_andn2_b64 exec, exec, s[10:11]
	s_cbranch_execnz .LBB1_2
.LBB1_3:
	s_or_b64 exec, exec, s[6:7]
	s_cmp_ge_i32 s3, s25
	s_waitcnt lgkmcnt(0)
	s_barrier
	s_cbranch_scc1 .LBB1_37
; %bb.4:
	s_load_dwordx2 s[6:7], s[0:1], 0x50
	s_load_dword s33, s[0:1], 0x48
	v_and_b32_e32 v1, 63, v0
	v_lshrrev_b32_e32 v5, 3, v0
	v_or_b32_e32 v20, 0x4000, v5
	s_waitcnt lgkmcnt(0)
	s_mul_i32 s1, s6, s12
	s_mul_hi_u32 s8, s6, s2
	s_mul_i32 s7, s7, s2
	s_add_i32 s1, s8, s1
	s_mul_i32 s0, s6, s2
	s_add_i32 s1, s1, s7
	s_lshl_b64 s[26:27], s[0:1], 3
	s_add_u32 s0, s22, s26
	s_addc_u32 s1, s23, s27
	s_lshl_b64 s[28:29], s[4:5], 3
	s_add_u32 s16, s0, s28
	s_addc_u32 s17, s1, s29
	s_mul_i32 s0, s20, s12
	s_mul_hi_u32 s1, s20, s2
	s_add_i32 s0, s1, s0
	s_mul_i32 s1, s21, s2
	s_add_i32 s1, s0, s1
	s_mul_i32 s0, s20, s2
	s_lshl_b64 s[0:1], s[0:1], 3
	s_add_u32 s18, s18, s0
	s_addc_u32 s19, s19, s1
	v_cmp_eq_u32_e64 s[0:1], 0, v1
	v_xad_u32 v1, v0, -1, s24
	s_cmp_gt_i32 s24, 1
	v_lshrrev_b32_e32 v3, 7, v1
	s_movk_i32 s2, 0x7f
	s_cselect_b64 s[20:21], -1, 0
	v_add_u32_e32 v4, 1, v3
	v_cmp_lt_u32_e64 s[6:7], s2, v1
	s_add_u32 s2, s26, s28
	v_add_u32_e32 v3, -1, v3
	v_and_b32_e32 v7, 0x3fffffe, v4
	s_addc_u32 s26, s27, s29
	v_lshrrev_b32_e32 v6, 1, v3
	v_cmp_ne_u32_e64 s[12:13], v4, v7
	v_mov_b32_e32 v4, 0
	s_add_u32 s22, s22, s2
	v_add_u32_e32 v6, 1, v6
	v_cmp_lt_u32_e64 s[8:9], 5, v3
	v_mov_b32_e32 v3, v4
	s_addc_u32 s23, s23, s26
	v_lshl_or_b32 v16, v7, 7, v0
	v_and_b32_e32 v17, 3, v6
	v_and_b32_e32 v18, -4, v6
	v_lshl_add_u64 v[6:7], s[22:23], 0, v[2:3]
	v_mbcnt_lo_u32_b32 v3, -1, 0
	v_mbcnt_hi_u32_b32 v3, -1, v3
	v_mov_b32_e32 v5, 0x80
	v_cmp_eq_u32_e64 s[4:5], 0, v0
	v_or_b32_e32 v1, 0x80, v0
	v_cmp_ne_u32_e64 s[10:11], 0, v17
	v_lshl_add_u64 v[6:7], v[6:7], 0, 4
	s_mul_i32 s26, s3, s33
	s_lshl_b32 s2, s33, 6
	s_mov_b64 s[28:29], 0x400
	v_and_b32_e32 v19, 63, v3
	v_lshl_or_b32 v21, v3, 2, v5
	v_lshlrev_b32_e32 v22, 3, v16
	s_branch .LBB1_6
.LBB1_5:                                ;   in Loop: Header=BB1_6 Depth=1
	s_or_b64 exec, exec, s[34:35]
	s_add_i32 s3, s3, 64
	s_add_i32 s26, s26, s2
	s_cmp_ge_i32 s3, s25
	s_cbranch_scc1 .LBB1_37
.LBB1_6:                                ; =>This Loop Header: Depth=1
                                        ;     Child Loop BB1_8 Depth 2
                                        ;     Child Loop BB1_26 Depth 2
	;; [unrolled: 1-line block ×4, first 2 shown]
	s_ashr_i32 s27, s26, 31
	v_mov_b32_e32 v5, v4
	s_lshl_b64 s[30:31], s[26:27], 3
	v_mov_b64_e32 v[8:9], v[4:5]
	s_and_saveexec_b64 s[34:35], s[14:15]
	s_cbranch_execz .LBB1_10
; %bb.7:                                ;   in Loop: Header=BB1_6 Depth=1
	v_mov_b32_e32 v8, 0
	v_lshl_add_u64 v[10:11], v[6:7], 0, s[30:31]
	s_mov_b64 s[36:37], 0
	v_mov_b32_e32 v5, v2
	v_mov_b32_e32 v12, v0
	;; [unrolled: 1-line block ×3, first 2 shown]
.LBB1_8:                                ;   Parent Loop BB1_6 Depth=1
                                        ; =>  This Inner Loop Header: Depth=2
	global_load_dwordx2 v[14:15], v[10:11], off offset:-4
	ds_read_b64 v[24:25], v5
	v_add_u32_e32 v12, 0x80, v12
	v_cmp_le_i32_e32 vcc, s24, v12
	v_add_u32_e32 v5, 0x400, v5
	v_lshl_add_u64 v[10:11], v[10:11], 0, s[28:29]
	s_or_b64 s[36:37], vcc, s[36:37]
	s_waitcnt vmcnt(0) lgkmcnt(0)
	v_mul_f32_e32 v26, v15, v25
	v_mul_f32_e32 v13, v15, v24
	v_fmac_f32_e32 v26, v14, v24
	v_fma_f32 v27, v14, v25, -v13
	v_pk_add_f32 v[8:9], v[8:9], v[26:27]
	s_andn2_b64 exec, exec, s[36:37]
	s_cbranch_execnz .LBB1_8
; %bb.9:                                ;   in Loop: Header=BB1_6 Depth=1
	s_or_b64 exec, exec, s[36:37]
.LBB1_10:                               ;   in Loop: Header=BB1_6 Depth=1
	s_or_b64 exec, exec, s[34:35]
	s_and_b64 vcc, exec, s[20:21]
	s_cbranch_vccz .LBB1_17
; %bb.11:                               ;   in Loop: Header=BB1_6 Depth=1
	v_cmp_ne_u32_e32 vcc, 63, v19
	s_nop 1
	v_addc_co_u32_e32 v5, vcc, 0, v3, vcc
	v_lshlrev_b32_e32 v5, 2, v5
	ds_bpermute_b32 v10, v5, v8
	ds_bpermute_b32 v11, v5, v9
	v_cmp_gt_u32_e32 vcc, 62, v19
	s_waitcnt lgkmcnt(0)
	v_pk_add_f32 v[10:11], v[8:9], v[10:11]
	v_cndmask_b32_e64 v5, 0, 2, vcc
	v_add_lshl_u32 v5, v5, v3, 2
	ds_bpermute_b32 v12, v5, v10
	ds_bpermute_b32 v13, v5, v11
	v_cmp_gt_u32_e32 vcc, 60, v19
	s_waitcnt lgkmcnt(0)
	v_pk_add_f32 v[10:11], v[10:11], v[12:13]
	v_cndmask_b32_e64 v5, 0, 4, vcc
	v_add_lshl_u32 v5, v5, v3, 2
	;; [unrolled: 7-line block ×4, first 2 shown]
	ds_bpermute_b32 v12, v5, v10
	ds_bpermute_b32 v13, v5, v11
	s_waitcnt lgkmcnt(0)
	v_pk_add_f32 v[10:11], v[10:11], v[12:13]
	ds_bpermute_b32 v12, v21, v10
	ds_bpermute_b32 v13, v21, v11
	s_waitcnt lgkmcnt(0)
	v_pk_add_f32 v[12:13], v[10:11], v[12:13]
	s_and_saveexec_b64 s[34:35], s[0:1]
; %bb.12:                               ;   in Loop: Header=BB1_6 Depth=1
	ds_write2_b32 v20, v12, v13 offset1:1
; %bb.13:                               ;   in Loop: Header=BB1_6 Depth=1
	s_or_b64 exec, exec, s[34:35]
	s_mov_b64 s[36:37], 0
	s_mov_b64 s[34:35], 0
	s_waitcnt lgkmcnt(0)
	s_barrier
                                        ; implicit-def: $vgpr10_vgpr11
	s_and_saveexec_b64 s[38:39], s[4:5]
	s_xor_b64 s[38:39], exec, s[38:39]
	s_cbranch_execz .LBB1_15
; %bb.14:                               ;   in Loop: Header=BB1_6 Depth=1
	ds_read_b64 v[10:11], v4 offset:16392
	s_mov_b64 s[34:35], exec
	s_waitcnt lgkmcnt(0)
	v_pk_add_f32 v[10:11], v[12:13], v[10:11]
.LBB1_15:                               ;   in Loop: Header=BB1_6 Depth=1
	s_or_b64 exec, exec, s[38:39]
	s_and_b64 vcc, exec, s[36:37]
	s_cbranch_vccnz .LBB1_18
.LBB1_16:                               ;   in Loop: Header=BB1_6 Depth=1
	v_mov_b64_e32 v[8:9], v[10:11]
	s_and_saveexec_b64 s[36:37], s[34:35]
	s_cbranch_execnz .LBB1_19
	s_branch .LBB1_20
.LBB1_17:                               ;   in Loop: Header=BB1_6 Depth=1
	s_mov_b64 s[34:35], 0
                                        ; implicit-def: $vgpr10_vgpr11
	s_cbranch_execz .LBB1_16
.LBB1_18:                               ;   in Loop: Header=BB1_6 Depth=1
	s_andn2_b64 s[34:35], s[34:35], exec
	s_and_b64 s[36:37], s[4:5], exec
	s_or_b64 s[34:35], s[34:35], s[36:37]
	s_and_saveexec_b64 s[36:37], s[34:35]
.LBB1_19:                               ;   in Loop: Header=BB1_6 Depth=1
	ds_write_b64 v4, v[8:9] offset:16384
.LBB1_20:                               ;   in Loop: Header=BB1_6 Depth=1
	s_or_b64 exec, exec, s[36:37]
	s_waitcnt lgkmcnt(0)
	s_barrier
	s_and_saveexec_b64 s[34:35], s[14:15]
	s_cbranch_execz .LBB1_5
; %bb.21:                               ;   in Loop: Header=BB1_6 Depth=1
	global_load_dwordx2 v[10:11], v4, s[18:19]
	ds_read_b64 v[8:9], v4 offset:16384
	s_mov_b64 s[38:39], 0
	s_waitcnt vmcnt(0) lgkmcnt(0)
	v_mul_f32_e32 v5, v11, v9
	v_mul_f32_e32 v11, v11, v8
	v_fma_f32 v8, v8, -v10, -v5
	v_fma_f32 v10, v10, v9, -v11
                                        ; implicit-def: $vgpr5
	s_and_saveexec_b64 s[36:37], s[6:7]
	s_xor_b64 s[36:37], exec, s[36:37]
	s_cbranch_execnz .LBB1_24
; %bb.22:                               ;   in Loop: Header=BB1_6 Depth=1
	s_or_saveexec_b64 s[36:37], s[36:37]
	v_mov_b32_e32 v12, v16
	s_xor_b64 exec, exec, s[36:37]
	s_cbranch_execnz .LBB1_34
.LBB1_23:                               ;   in Loop: Header=BB1_6 Depth=1
	s_or_b64 exec, exec, s[36:37]
	s_and_b64 exec, exec, s[38:39]
	s_cbranch_execz .LBB1_5
	s_branch .LBB1_35
.LBB1_24:                               ;   in Loop: Header=BB1_6 Depth=1
	s_mul_i32 s27, s3, s33
	v_mov_b32_e32 v9, v8
	v_mov_b32_e32 v11, v10
	;; [unrolled: 1-line block ×3, first 2 shown]
	v_mov_b64_e32 v[12:13], v[0:1]
	s_and_saveexec_b64 s[38:39], s[8:9]
	s_cbranch_execz .LBB1_28
; %bb.25:                               ;   in Loop: Header=BB1_6 Depth=1
	s_add_i32 s42, s27, 0x100
	s_add_i32 s44, s27, 0x200
	;; [unrolled: 1-line block ×3, first 2 shown]
	s_mov_b32 s43, s42
	s_mov_b32 s45, s44
	;; [unrolled: 1-line block ×4, first 2 shown]
	s_mov_b64 s[40:41], 0
	v_mov_b32_e32 v5, v18
	v_mov_b32_e32 v14, v2
	v_mov_b64_e32 v[12:13], v[0:1]
.LBB1_26:                               ;   Parent Loop BB1_6 Depth=1
                                        ; =>  This Inner Loop Header: Depth=2
	v_add_u32_e32 v24, s27, v12
	v_add_u32_e32 v26, s27, v13
	v_ashrrev_i32_e32 v25, 31, v24
	v_ashrrev_i32_e32 v27, 31, v26
	v_lshl_add_u64 v[28:29], v[24:25], 3, s[16:17]
	v_lshl_add_u64 v[30:31], v[26:27], 3, s[16:17]
	global_load_dwordx2 v[40:41], v[28:29], off
	global_load_dwordx2 v[32:33], v[30:31], off
	ds_read2st64_b64 v[24:27], v14 offset1:2
	v_add_u32_e32 v34, s42, v12
	v_add_u32_e32 v36, s43, v13
	v_ashrrev_i32_e32 v35, 31, v34
	v_ashrrev_i32_e32 v37, 31, v36
	s_waitcnt lgkmcnt(0)
	v_mov_b32_e32 v39, v26
	v_mov_b32_e32 v26, v25
	v_mov_b32_e32 v38, v24
	v_pk_mul_f32 v[24:25], v[10:11], v[26:27]
	v_pk_mul_f32 v[26:27], v[8:9], v[26:27]
	v_pk_fma_f32 v[24:25], v[8:9], v[38:39], v[24:25] neg_lo:[0,0,1] neg_hi:[0,0,1]
	v_pk_fma_f32 v[26:27], v[10:11], v[38:39], v[26:27]
	v_lshl_add_u64 v[34:35], v[34:35], 3, s[16:17]
	v_lshl_add_u64 v[36:37], v[36:37], 3, s[16:17]
	v_add_u32_e32 v5, -4, v5
	s_add_i32 s48, s48, 8
	v_cmp_eq_u32_e32 vcc, 0, v5
	v_mov_b32_e32 v15, s48
	s_or_b64 s[40:41], vcc, s[40:41]
	s_waitcnt vmcnt(1)
	v_mov_b32_e32 v38, v40
	s_waitcnt vmcnt(0)
	v_mov_b32_e32 v39, v32
	v_mov_b32_e32 v32, v41
	v_pk_add_f32 v[24:25], v[38:39], v[24:25]
	v_pk_add_f32 v[26:27], v[26:27], v[32:33]
	v_mov_b32_e32 v32, v24
	v_mov_b32_e32 v33, v26
	;; [unrolled: 1-line block ×3, first 2 shown]
	global_store_dwordx2 v[28:29], v[32:33], off
	global_store_dwordx2 v[30:31], v[26:27], off
	global_load_dwordx2 v[40:41], v[34:35], off
	s_nop 0
	global_load_dwordx2 v[28:29], v[36:37], off
	ds_read2st64_b64 v[24:27], v14 offset0:4 offset1:6
	v_add_u32_e32 v30, s44, v12
	v_add_u32_e32 v32, s45, v13
	v_ashrrev_i32_e32 v31, 31, v30
	v_ashrrev_i32_e32 v33, 31, v32
	s_waitcnt lgkmcnt(0)
	v_mov_b32_e32 v39, v26
	v_mov_b32_e32 v26, v25
	;; [unrolled: 1-line block ×3, first 2 shown]
	v_pk_mul_f32 v[24:25], v[10:11], v[26:27]
	v_pk_mul_f32 v[26:27], v[8:9], v[26:27]
	v_pk_fma_f32 v[24:25], v[8:9], v[38:39], v[24:25] neg_lo:[0,0,1] neg_hi:[0,0,1]
	v_pk_fma_f32 v[26:27], v[10:11], v[38:39], v[26:27]
	v_lshl_add_u64 v[30:31], v[30:31], 3, s[16:17]
	v_lshl_add_u64 v[32:33], v[32:33], 3, s[16:17]
	s_waitcnt vmcnt(1)
	v_mov_b32_e32 v38, v40
	s_waitcnt vmcnt(0)
	v_mov_b32_e32 v39, v28
	v_mov_b32_e32 v28, v41
	v_pk_add_f32 v[24:25], v[38:39], v[24:25]
	v_pk_add_f32 v[26:27], v[26:27], v[28:29]
	v_mov_b32_e32 v28, v24
	v_mov_b32_e32 v29, v26
	;; [unrolled: 1-line block ×3, first 2 shown]
	global_store_dwordx2 v[34:35], v[28:29], off
	global_store_dwordx2 v[36:37], v[26:27], off
	global_load_dwordx2 v[40:41], v[30:31], off
	s_nop 0
	global_load_dwordx2 v[28:29], v[32:33], off
	ds_read2st64_b64 v[24:27], v14 offset0:8 offset1:10
	v_add_u32_e32 v34, s46, v12
	v_add_u32_e32 v36, s47, v13
	v_ashrrev_i32_e32 v35, 31, v34
	v_ashrrev_i32_e32 v37, 31, v36
	s_waitcnt lgkmcnt(0)
	v_mov_b32_e32 v39, v26
	v_mov_b32_e32 v26, v25
	;; [unrolled: 1-line block ×3, first 2 shown]
	v_pk_mul_f32 v[24:25], v[10:11], v[26:27]
	v_pk_mul_f32 v[26:27], v[8:9], v[26:27]
	v_pk_fma_f32 v[24:25], v[8:9], v[38:39], v[24:25] neg_lo:[0,0,1] neg_hi:[0,0,1]
	v_pk_fma_f32 v[26:27], v[10:11], v[38:39], v[26:27]
	v_lshl_add_u64 v[34:35], v[34:35], 3, s[16:17]
	v_lshl_add_u64 v[36:37], v[36:37], 3, s[16:17]
	v_add_u32_e32 v13, 0x400, v13
	v_add_u32_e32 v12, 0x400, v12
	s_waitcnt vmcnt(1)
	v_mov_b32_e32 v38, v40
	s_waitcnt vmcnt(0)
	v_mov_b32_e32 v39, v28
	v_mov_b32_e32 v28, v41
	v_pk_add_f32 v[24:25], v[38:39], v[24:25]
	v_pk_add_f32 v[26:27], v[26:27], v[28:29]
	v_mov_b32_e32 v28, v24
	v_mov_b32_e32 v29, v26
	;; [unrolled: 1-line block ×3, first 2 shown]
	global_store_dwordx2 v[30:31], v[28:29], off
	global_store_dwordx2 v[32:33], v[26:27], off
	global_load_dwordx2 v[32:33], v[34:35], off
	s_nop 0
	global_load_dwordx2 v[28:29], v[36:37], off
	ds_read2st64_b64 v[24:27], v14 offset0:12 offset1:14
	v_add_u32_e32 v14, 0x2000, v14
	s_waitcnt lgkmcnt(0)
	v_mov_b32_e32 v31, v26
	v_mov_b32_e32 v26, v25
	;; [unrolled: 1-line block ×3, first 2 shown]
	v_pk_mul_f32 v[24:25], v[10:11], v[26:27]
	v_pk_mul_f32 v[26:27], v[8:9], v[26:27]
	v_pk_fma_f32 v[24:25], v[8:9], v[30:31], v[24:25] neg_lo:[0,0,1] neg_hi:[0,0,1]
	v_pk_fma_f32 v[26:27], v[10:11], v[30:31], v[26:27]
	s_waitcnt vmcnt(1)
	v_mov_b32_e32 v30, v32
	s_waitcnt vmcnt(0)
	v_mov_b32_e32 v31, v28
	v_mov_b32_e32 v28, v33
	v_pk_add_f32 v[24:25], v[30:31], v[24:25]
	v_pk_add_f32 v[26:27], v[26:27], v[28:29]
	v_mov_b32_e32 v28, v24
	v_mov_b32_e32 v29, v26
	;; [unrolled: 1-line block ×3, first 2 shown]
	global_store_dwordx2 v[34:35], v[28:29], off
	global_store_dwordx2 v[36:37], v[26:27], off
	s_andn2_b64 exec, exec, s[40:41]
	s_cbranch_execnz .LBB1_26
; %bb.27:                               ;   in Loop: Header=BB1_6 Depth=1
	s_or_b64 exec, exec, s[40:41]
.LBB1_28:                               ;   in Loop: Header=BB1_6 Depth=1
	s_or_b64 exec, exec, s[38:39]
	s_and_saveexec_b64 s[38:39], s[10:11]
	s_cbranch_execz .LBB1_31
; %bb.29:                               ;   in Loop: Header=BB1_6 Depth=1
	v_lshl_or_b32 v5, v15, 10, v2
	s_mov_b64 s[40:41], 0
	v_mov_b32_e32 v14, v17
.LBB1_30:                               ;   Parent Loop BB1_6 Depth=1
                                        ; =>  This Inner Loop Header: Depth=2
	v_add_u32_e32 v24, s27, v12
	v_add_u32_e32 v26, s27, v13
	v_ashrrev_i32_e32 v25, 31, v24
	v_ashrrev_i32_e32 v27, 31, v26
	v_lshl_add_u64 v[28:29], v[24:25], 3, s[16:17]
	v_lshl_add_u64 v[30:31], v[26:27], 3, s[16:17]
	global_load_dwordx2 v[36:37], v[28:29], off
	global_load_dwordx2 v[32:33], v[30:31], off
	ds_read2st64_b64 v[24:27], v5 offset1:2
	v_add_u32_e32 v14, -1, v14
	v_cmp_eq_u32_e32 vcc, 0, v14
	v_add_u32_e32 v13, 0x100, v13
	v_add_u32_e32 v12, 0x100, v12
	s_waitcnt lgkmcnt(0)
	v_mov_b32_e32 v35, v26
	v_mov_b32_e32 v26, v25
	;; [unrolled: 1-line block ×3, first 2 shown]
	v_pk_mul_f32 v[24:25], v[10:11], v[26:27]
	v_pk_mul_f32 v[26:27], v[8:9], v[26:27]
	v_pk_fma_f32 v[24:25], v[8:9], v[34:35], v[24:25] neg_lo:[0,0,1] neg_hi:[0,0,1]
	v_pk_fma_f32 v[26:27], v[10:11], v[34:35], v[26:27]
	v_add_u32_e32 v5, 0x800, v5
	s_or_b64 s[40:41], vcc, s[40:41]
	s_waitcnt vmcnt(1)
	v_mov_b32_e32 v34, v36
	s_waitcnt vmcnt(0)
	v_mov_b32_e32 v35, v32
	v_mov_b32_e32 v32, v37
	v_pk_add_f32 v[24:25], v[34:35], v[24:25]
	v_pk_add_f32 v[26:27], v[26:27], v[32:33]
	v_mov_b32_e32 v32, v24
	v_mov_b32_e32 v33, v26
	;; [unrolled: 1-line block ×3, first 2 shown]
	global_store_dwordx2 v[28:29], v[32:33], off
	global_store_dwordx2 v[30:31], v[26:27], off
	s_andn2_b64 exec, exec, s[40:41]
	s_cbranch_execnz .LBB1_30
.LBB1_31:                               ;   in Loop: Header=BB1_6 Depth=1
	s_or_b64 exec, exec, s[38:39]
	s_mov_b64 s[38:39], 0
	s_and_saveexec_b64 s[40:41], s[12:13]
	s_xor_b64 s[40:41], exec, s[40:41]
; %bb.32:                               ;   in Loop: Header=BB1_6 Depth=1
	s_mov_b64 s[38:39], exec
; %bb.33:                               ;   in Loop: Header=BB1_6 Depth=1
	s_or_b64 exec, exec, s[40:41]
	s_and_b64 s[38:39], s[38:39], exec
	v_mov_b32_e32 v5, v22
	s_or_saveexec_b64 s[36:37], s[36:37]
	v_mov_b32_e32 v12, v16
	s_xor_b64 exec, exec, s[36:37]
	s_cbranch_execz .LBB1_23
.LBB1_34:                               ;   in Loop: Header=BB1_6 Depth=1
	s_or_b64 s[38:39], s[38:39], exec
	v_mov_b32_e32 v12, v0
	v_mov_b32_e32 v5, v2
	s_or_b64 exec, exec, s[36:37]
	s_and_b64 exec, exec, s[38:39]
	s_cbranch_execz .LBB1_5
.LBB1_35:                               ;   in Loop: Header=BB1_6 Depth=1
	s_add_u32 s30, s22, s30
	v_ashrrev_i32_e32 v13, 31, v12
	s_addc_u32 s31, s23, s31
	v_mov_b32_e32 v11, v10
	v_mov_b32_e32 v9, v8
	v_lshl_add_u64 v[14:15], v[12:13], 3, s[30:31]
	s_mov_b64 s[30:31], 0
.LBB1_36:                               ;   Parent Loop BB1_6 Depth=1
                                        ; =>  This Inner Loop Header: Depth=2
	global_load_dwordx2 v[24:25], v[14:15], off
	ds_read_b64 v[26:27], v5
	v_add_u32_e32 v12, 0x80, v12
	v_cmp_le_i32_e32 vcc, s24, v12
	s_or_b64 s[30:31], vcc, s[30:31]
	v_add_u32_e32 v5, 0x400, v5
	s_waitcnt lgkmcnt(0)
	v_pk_mul_f32 v[28:29], v[10:11], v[26:27] op_sel:[0,1] op_sel_hi:[1,0]
	s_nop 0
	v_pk_fma_f32 v[30:31], v[8:9], v[26:27], v[28:29] neg_lo:[0,0,1] neg_hi:[0,0,1]
	v_pk_fma_f32 v[26:27], v[8:9], v[26:27], v[28:29]
	s_nop 0
	v_mov_b32_e32 v31, v27
	s_waitcnt vmcnt(0)
	v_pk_add_f32 v[24:25], v[24:25], v[30:31]
	global_store_dwordx2 v[14:15], v[24:25], off
	v_lshl_add_u64 v[14:15], v[14:15], 0, s[28:29]
	s_andn2_b64 exec, exec, s[30:31]
	s_cbranch_execnz .LBB1_36
	s_branch .LBB1_5
.LBB1_37:
	s_endpgm
	.section	.rodata,"a",@progbits
	.p2align	6, 0x0
	.amdhsa_kernel _ZN9rocsolver6v33100L22larf_left_kernel_smallILi128E19rocblas_complex_numIfEiPS3_EEvT1_S5_T2_lS5_lPKT0_lS6_lS5_l
		.amdhsa_group_segment_fixed_size 17408
		.amdhsa_private_segment_fixed_size 0
		.amdhsa_kernarg_size 88
		.amdhsa_user_sgpr_count 2
		.amdhsa_user_sgpr_dispatch_ptr 0
		.amdhsa_user_sgpr_queue_ptr 0
		.amdhsa_user_sgpr_kernarg_segment_ptr 1
		.amdhsa_user_sgpr_dispatch_id 0
		.amdhsa_user_sgpr_kernarg_preload_length 0
		.amdhsa_user_sgpr_kernarg_preload_offset 0
		.amdhsa_user_sgpr_private_segment_size 0
		.amdhsa_uses_dynamic_stack 0
		.amdhsa_enable_private_segment 0
		.amdhsa_system_sgpr_workgroup_id_x 1
		.amdhsa_system_sgpr_workgroup_id_y 1
		.amdhsa_system_sgpr_workgroup_id_z 0
		.amdhsa_system_sgpr_workgroup_info 0
		.amdhsa_system_vgpr_workitem_id 0
		.amdhsa_next_free_vgpr 81
		.amdhsa_next_free_sgpr 96
		.amdhsa_accum_offset 44
		.amdhsa_reserve_vcc 1
		.amdhsa_float_round_mode_32 0
		.amdhsa_float_round_mode_16_64 0
		.amdhsa_float_denorm_mode_32 3
		.amdhsa_float_denorm_mode_16_64 3
		.amdhsa_dx10_clamp 1
		.amdhsa_ieee_mode 1
		.amdhsa_fp16_overflow 0
		.amdhsa_tg_split 0
		.amdhsa_exception_fp_ieee_invalid_op 0
		.amdhsa_exception_fp_denorm_src 0
		.amdhsa_exception_fp_ieee_div_zero 0
		.amdhsa_exception_fp_ieee_overflow 0
		.amdhsa_exception_fp_ieee_underflow 0
		.amdhsa_exception_fp_ieee_inexact 0
		.amdhsa_exception_int_div_zero 0
	.end_amdhsa_kernel
	.section	.text._ZN9rocsolver6v33100L22larf_left_kernel_smallILi128E19rocblas_complex_numIfEiPS3_EEvT1_S5_T2_lS5_lPKT0_lS6_lS5_l,"axG",@progbits,_ZN9rocsolver6v33100L22larf_left_kernel_smallILi128E19rocblas_complex_numIfEiPS3_EEvT1_S5_T2_lS5_lPKT0_lS6_lS5_l,comdat
.Lfunc_end1:
	.size	_ZN9rocsolver6v33100L22larf_left_kernel_smallILi128E19rocblas_complex_numIfEiPS3_EEvT1_S5_T2_lS5_lPKT0_lS6_lS5_l, .Lfunc_end1-_ZN9rocsolver6v33100L22larf_left_kernel_smallILi128E19rocblas_complex_numIfEiPS3_EEvT1_S5_T2_lS5_lPKT0_lS6_lS5_l
                                        ; -- End function
	.set _ZN9rocsolver6v33100L22larf_left_kernel_smallILi128E19rocblas_complex_numIfEiPS3_EEvT1_S5_T2_lS5_lPKT0_lS6_lS5_l.num_vgpr, 42
	.set _ZN9rocsolver6v33100L22larf_left_kernel_smallILi128E19rocblas_complex_numIfEiPS3_EEvT1_S5_T2_lS5_lPKT0_lS6_lS5_l.num_agpr, 0
	.set _ZN9rocsolver6v33100L22larf_left_kernel_smallILi128E19rocblas_complex_numIfEiPS3_EEvT1_S5_T2_lS5_lPKT0_lS6_lS5_l.numbered_sgpr, 49
	.set _ZN9rocsolver6v33100L22larf_left_kernel_smallILi128E19rocblas_complex_numIfEiPS3_EEvT1_S5_T2_lS5_lPKT0_lS6_lS5_l.num_named_barrier, 0
	.set _ZN9rocsolver6v33100L22larf_left_kernel_smallILi128E19rocblas_complex_numIfEiPS3_EEvT1_S5_T2_lS5_lPKT0_lS6_lS5_l.private_seg_size, 0
	.set _ZN9rocsolver6v33100L22larf_left_kernel_smallILi128E19rocblas_complex_numIfEiPS3_EEvT1_S5_T2_lS5_lPKT0_lS6_lS5_l.uses_vcc, 1
	.set _ZN9rocsolver6v33100L22larf_left_kernel_smallILi128E19rocblas_complex_numIfEiPS3_EEvT1_S5_T2_lS5_lPKT0_lS6_lS5_l.uses_flat_scratch, 0
	.set _ZN9rocsolver6v33100L22larf_left_kernel_smallILi128E19rocblas_complex_numIfEiPS3_EEvT1_S5_T2_lS5_lPKT0_lS6_lS5_l.has_dyn_sized_stack, 0
	.set _ZN9rocsolver6v33100L22larf_left_kernel_smallILi128E19rocblas_complex_numIfEiPS3_EEvT1_S5_T2_lS5_lPKT0_lS6_lS5_l.has_recursion, 0
	.set _ZN9rocsolver6v33100L22larf_left_kernel_smallILi128E19rocblas_complex_numIfEiPS3_EEvT1_S5_T2_lS5_lPKT0_lS6_lS5_l.has_indirect_call, 0
	.section	.AMDGPU.csdata,"",@progbits
; Kernel info:
; codeLenInByte = 2564
; TotalNumSgprs: 55
; NumVgprs: 42
; NumAgprs: 0
; TotalNumVgprs: 42
; ScratchSize: 0
; MemoryBound: 0
; FloatMode: 240
; IeeeMode: 1
; LDSByteSize: 17408 bytes/workgroup (compile time only)
; SGPRBlocks: 12
; VGPRBlocks: 10
; NumSGPRsForWavesPerEU: 102
; NumVGPRsForWavesPerEU: 81
; AccumOffset: 44
; Occupancy: 5
; WaveLimiterHint : 0
; COMPUTE_PGM_RSRC2:SCRATCH_EN: 0
; COMPUTE_PGM_RSRC2:USER_SGPR: 2
; COMPUTE_PGM_RSRC2:TRAP_HANDLER: 0
; COMPUTE_PGM_RSRC2:TGID_X_EN: 1
; COMPUTE_PGM_RSRC2:TGID_Y_EN: 1
; COMPUTE_PGM_RSRC2:TGID_Z_EN: 0
; COMPUTE_PGM_RSRC2:TIDIG_COMP_CNT: 0
; COMPUTE_PGM_RSRC3_GFX90A:ACCUM_OFFSET: 10
; COMPUTE_PGM_RSRC3_GFX90A:TG_SPLIT: 0
	.section	.text._ZN9rocsolver6v33100L22larf_left_kernel_smallILi256E19rocblas_complex_numIfEiPS3_EEvT1_S5_T2_lS5_lPKT0_lS6_lS5_l,"axG",@progbits,_ZN9rocsolver6v33100L22larf_left_kernel_smallILi256E19rocblas_complex_numIfEiPS3_EEvT1_S5_T2_lS5_lPKT0_lS6_lS5_l,comdat
	.globl	_ZN9rocsolver6v33100L22larf_left_kernel_smallILi256E19rocblas_complex_numIfEiPS3_EEvT1_S5_T2_lS5_lPKT0_lS6_lS5_l ; -- Begin function _ZN9rocsolver6v33100L22larf_left_kernel_smallILi256E19rocblas_complex_numIfEiPS3_EEvT1_S5_T2_lS5_lPKT0_lS6_lS5_l
	.p2align	8
	.type	_ZN9rocsolver6v33100L22larf_left_kernel_smallILi256E19rocblas_complex_numIfEiPS3_EEvT1_S5_T2_lS5_lPKT0_lS6_lS5_l,@function
_ZN9rocsolver6v33100L22larf_left_kernel_smallILi256E19rocblas_complex_numIfEiPS3_EEvT1_S5_T2_lS5_lPKT0_lS6_lS5_l: ; @_ZN9rocsolver6v33100L22larf_left_kernel_smallILi256E19rocblas_complex_numIfEiPS3_EEvT1_S5_T2_lS5_lPKT0_lS6_lS5_l
; %bb.0:
	s_load_dwordx2 s[24:25], s[0:1], 0x0
	s_load_dwordx8 s[16:23], s[0:1], 0x20
	s_load_dwordx2 s[4:5], s[0:1], 0x40
	s_ashr_i32 s12, s2, 31
	v_lshlrev_b32_e32 v2, 3, v0
	s_waitcnt lgkmcnt(0)
	v_cmp_gt_i32_e64 s[14:15], s24, v0
	s_and_saveexec_b64 s[6:7], s[14:15]
	s_cbranch_execz .LBB2_3
; %bb.1:
	s_load_dwordx4 s[8:11], s[0:1], 0x8
	s_load_dword s13, s[0:1], 0x18
	s_mul_i32 s26, s16, s12
	s_mul_hi_u32 s27, s16, s2
	s_add_i32 s26, s27, s26
	s_mul_i32 s17, s17, s2
	s_add_i32 s17, s26, s17
	s_mul_i32 s16, s16, s2
	s_lshl_b64 s[16:17], s[16:17], 3
	s_waitcnt lgkmcnt(0)
	s_add_u32 s16, s8, s16
	s_addc_u32 s17, s9, s17
	s_lshl_b64 s[8:9], s[10:11], 3
	s_add_u32 s8, s16, s8
	s_addc_u32 s9, s17, s9
	s_sub_i32 s10, 1, s24
	s_mul_i32 s10, s13, s10
	s_cmp_lt_i32 s13, 1
	s_cselect_b32 s10, s10, 0
	v_mul_lo_u32 v1, v0, s13
	v_add_u32_e32 v4, s10, v1
	s_lshl_b32 s13, s13, 8
	v_lshlrev_b32_e32 v1, 3, v0
	s_mov_b64 s[10:11], 0
	v_mov_b32_e32 v3, v0
.LBB2_2:                                ; =>This Inner Loop Header: Depth=1
	v_ashrrev_i32_e32 v5, 31, v4
	v_lshl_add_u64 v[6:7], v[4:5], 3, s[8:9]
	global_load_dwordx2 v[6:7], v[6:7], off
	v_add_u32_e32 v3, 0x100, v3
	v_cmp_le_i32_e32 vcc, s24, v3
	v_add_u32_e32 v4, s13, v4
	s_or_b64 s[10:11], vcc, s[10:11]
	s_waitcnt vmcnt(0)
	ds_write_b64 v1, v[6:7]
	v_add_u32_e32 v1, 0x800, v1
	s_andn2_b64 exec, exec, s[10:11]
	s_cbranch_execnz .LBB2_2
.LBB2_3:
	s_or_b64 exec, exec, s[6:7]
	s_cmp_ge_i32 s3, s25
	s_waitcnt lgkmcnt(0)
	s_barrier
	s_cbranch_scc1 .LBB2_37
; %bb.4:
	s_load_dwordx2 s[6:7], s[0:1], 0x50
	s_load_dword s33, s[0:1], 0x48
	v_and_b32_e32 v1, 63, v0
	v_lshrrev_b32_e32 v5, 3, v0
	v_or_b32_e32 v20, 0x4000, v5
	s_waitcnt lgkmcnt(0)
	s_mul_i32 s1, s6, s12
	s_mul_hi_u32 s8, s6, s2
	s_mul_i32 s7, s7, s2
	s_add_i32 s1, s8, s1
	s_mul_i32 s0, s6, s2
	s_add_i32 s1, s1, s7
	s_lshl_b64 s[26:27], s[0:1], 3
	s_add_u32 s0, s22, s26
	s_addc_u32 s1, s23, s27
	s_lshl_b64 s[28:29], s[4:5], 3
	s_add_u32 s16, s0, s28
	s_addc_u32 s17, s1, s29
	s_mul_i32 s0, s20, s12
	s_mul_hi_u32 s1, s20, s2
	s_add_i32 s0, s1, s0
	s_mul_i32 s1, s21, s2
	s_add_i32 s1, s0, s1
	s_mul_i32 s0, s20, s2
	s_lshl_b64 s[0:1], s[0:1], 3
	s_add_u32 s18, s18, s0
	s_addc_u32 s19, s19, s1
	v_cmp_eq_u32_e64 s[0:1], 0, v1
	v_xad_u32 v1, v0, -1, s24
	s_cmp_gt_i32 s24, 1
	v_lshrrev_b32_e32 v3, 8, v1
	s_movk_i32 s2, 0xff
	s_cselect_b64 s[20:21], -1, 0
	v_add_u32_e32 v4, 1, v3
	v_cmp_lt_u32_e64 s[6:7], s2, v1
	s_add_u32 s2, s26, s28
	v_add_u32_e32 v3, -1, v3
	v_and_b32_e32 v7, 0x1fffffe, v4
	s_addc_u32 s26, s27, s29
	v_lshrrev_b32_e32 v6, 1, v3
	v_cmp_ne_u32_e64 s[12:13], v4, v7
	v_mov_b32_e32 v4, 0
	s_add_u32 s22, s22, s2
	v_add_u32_e32 v6, 1, v6
	v_cmp_lt_u32_e64 s[8:9], 5, v3
	v_mov_b32_e32 v3, v4
	s_addc_u32 s23, s23, s26
	v_lshl_or_b32 v16, v7, 8, v0
	v_and_b32_e32 v17, 3, v6
	v_and_b32_e32 v18, -4, v6
	v_lshl_add_u64 v[6:7], s[22:23], 0, v[2:3]
	v_mbcnt_lo_u32_b32 v3, -1, 0
	v_mbcnt_hi_u32_b32 v3, -1, v3
	v_mov_b32_e32 v5, 0x80
	v_cmp_eq_u32_e64 s[4:5], 0, v0
	v_or_b32_e32 v1, 0x100, v0
	v_cmp_ne_u32_e64 s[10:11], 0, v17
	v_lshl_add_u64 v[6:7], v[6:7], 0, 4
	s_mul_i32 s26, s3, s33
	s_lshl_b32 s2, s33, 6
	s_mov_b64 s[28:29], 0x800
	v_and_b32_e32 v19, 63, v3
	v_mov_b32_e32 v21, 0x4008
	v_lshl_or_b32 v22, v3, 2, v5
	s_branch .LBB2_6
.LBB2_5:                                ;   in Loop: Header=BB2_6 Depth=1
	s_or_b64 exec, exec, s[34:35]
	s_add_i32 s3, s3, 64
	s_add_i32 s26, s26, s2
	s_cmp_ge_i32 s3, s25
	s_cbranch_scc1 .LBB2_37
.LBB2_6:                                ; =>This Loop Header: Depth=1
                                        ;     Child Loop BB2_8 Depth 2
                                        ;     Child Loop BB2_26 Depth 2
	;; [unrolled: 1-line block ×4, first 2 shown]
	s_ashr_i32 s27, s26, 31
	v_mov_b32_e32 v5, v4
	s_lshl_b64 s[30:31], s[26:27], 3
	v_mov_b64_e32 v[8:9], v[4:5]
	s_and_saveexec_b64 s[34:35], s[14:15]
	s_cbranch_execz .LBB2_10
; %bb.7:                                ;   in Loop: Header=BB2_6 Depth=1
	v_lshl_add_u64 v[10:11], v[6:7], 0, s[30:31]
	v_mov_b32_e32 v9, 0
	s_mov_b64 s[36:37], 0
	v_mov_b32_e32 v5, v2
	v_mov_b32_e32 v12, v0
	;; [unrolled: 1-line block ×3, first 2 shown]
.LBB2_8:                                ;   Parent Loop BB2_6 Depth=1
                                        ; =>  This Inner Loop Header: Depth=2
	global_load_dwordx2 v[14:15], v[10:11], off offset:-4
	ds_read_b64 v[24:25], v5
	v_add_u32_e32 v12, 0x100, v12
	v_cmp_le_i32_e32 vcc, s24, v12
	v_add_u32_e32 v5, 0x800, v5
	v_lshl_add_u64 v[10:11], v[10:11], 0, s[28:29]
	s_or_b64 s[36:37], vcc, s[36:37]
	s_waitcnt vmcnt(0) lgkmcnt(0)
	v_mul_f32_e32 v13, v15, v25
	v_mul_f32_e32 v15, v15, v24
	v_fmac_f32_e32 v13, v14, v24
	v_fma_f32 v14, v14, v25, -v15
	v_add_f32_e32 v8, v8, v13
	v_add_f32_e32 v9, v9, v14
	s_andn2_b64 exec, exec, s[36:37]
	s_cbranch_execnz .LBB2_8
; %bb.9:                                ;   in Loop: Header=BB2_6 Depth=1
	s_or_b64 exec, exec, s[36:37]
.LBB2_10:                               ;   in Loop: Header=BB2_6 Depth=1
	s_or_b64 exec, exec, s[34:35]
	s_and_b64 vcc, exec, s[20:21]
	s_cbranch_vccz .LBB2_17
; %bb.11:                               ;   in Loop: Header=BB2_6 Depth=1
	v_cmp_ne_u32_e32 vcc, 63, v19
	s_nop 1
	v_addc_co_u32_e32 v5, vcc, 0, v3, vcc
	v_lshlrev_b32_e32 v5, 2, v5
	ds_bpermute_b32 v10, v5, v8
	ds_bpermute_b32 v11, v5, v9
	v_cmp_gt_u32_e32 vcc, 62, v19
	s_waitcnt lgkmcnt(0)
	v_pk_add_f32 v[10:11], v[8:9], v[10:11]
	v_cndmask_b32_e64 v5, 0, 2, vcc
	v_add_lshl_u32 v5, v5, v3, 2
	ds_bpermute_b32 v12, v5, v10
	ds_bpermute_b32 v13, v5, v11
	v_cmp_gt_u32_e32 vcc, 60, v19
	s_waitcnt lgkmcnt(0)
	v_pk_add_f32 v[10:11], v[10:11], v[12:13]
	v_cndmask_b32_e64 v5, 0, 4, vcc
	v_add_lshl_u32 v5, v5, v3, 2
	;; [unrolled: 7-line block ×4, first 2 shown]
	ds_bpermute_b32 v12, v5, v10
	ds_bpermute_b32 v13, v5, v11
	s_waitcnt lgkmcnt(0)
	v_pk_add_f32 v[10:11], v[10:11], v[12:13]
	ds_bpermute_b32 v12, v22, v10
	ds_bpermute_b32 v13, v22, v11
	s_waitcnt lgkmcnt(0)
	v_pk_add_f32 v[12:13], v[10:11], v[12:13]
	s_and_saveexec_b64 s[34:35], s[0:1]
; %bb.12:                               ;   in Loop: Header=BB2_6 Depth=1
	ds_write2_b32 v20, v12, v13 offset1:1
; %bb.13:                               ;   in Loop: Header=BB2_6 Depth=1
	s_or_b64 exec, exec, s[34:35]
	s_mov_b64 s[36:37], 0
	s_mov_b64 s[34:35], 0
	s_waitcnt lgkmcnt(0)
	s_barrier
                                        ; implicit-def: $vgpr10_vgpr11
	s_and_saveexec_b64 s[38:39], s[4:5]
	s_xor_b64 s[38:39], exec, s[38:39]
	s_cbranch_execz .LBB2_15
; %bb.14:                               ;   in Loop: Header=BB2_6 Depth=1
	ds_read2_b64 v[24:27], v21 offset1:1
	ds_read_b64 v[10:11], v4 offset:16408
	s_mov_b64 s[34:35], exec
	s_waitcnt lgkmcnt(1)
	v_pk_add_f32 v[12:13], v[12:13], v[24:25]
	s_nop 0
	v_pk_add_f32 v[12:13], v[12:13], v[26:27]
	s_waitcnt lgkmcnt(0)
	v_pk_add_f32 v[10:11], v[12:13], v[10:11]
.LBB2_15:                               ;   in Loop: Header=BB2_6 Depth=1
	s_or_b64 exec, exec, s[38:39]
	s_and_b64 vcc, exec, s[36:37]
	s_cbranch_vccnz .LBB2_18
.LBB2_16:                               ;   in Loop: Header=BB2_6 Depth=1
	v_mov_b64_e32 v[8:9], v[10:11]
	s_and_saveexec_b64 s[36:37], s[34:35]
	s_cbranch_execnz .LBB2_19
	s_branch .LBB2_20
.LBB2_17:                               ;   in Loop: Header=BB2_6 Depth=1
	s_mov_b64 s[34:35], 0
                                        ; implicit-def: $vgpr10_vgpr11
	s_cbranch_execz .LBB2_16
.LBB2_18:                               ;   in Loop: Header=BB2_6 Depth=1
	s_andn2_b64 s[34:35], s[34:35], exec
	s_and_b64 s[36:37], s[4:5], exec
	s_or_b64 s[34:35], s[34:35], s[36:37]
	s_and_saveexec_b64 s[36:37], s[34:35]
.LBB2_19:                               ;   in Loop: Header=BB2_6 Depth=1
	ds_write_b64 v4, v[8:9] offset:16384
.LBB2_20:                               ;   in Loop: Header=BB2_6 Depth=1
	s_or_b64 exec, exec, s[36:37]
	s_waitcnt lgkmcnt(0)
	s_barrier
	s_and_saveexec_b64 s[34:35], s[14:15]
	s_cbranch_execz .LBB2_5
; %bb.21:                               ;   in Loop: Header=BB2_6 Depth=1
	global_load_dwordx2 v[10:11], v4, s[18:19]
	ds_read_b64 v[8:9], v4 offset:16384
	s_mov_b64 s[38:39], 0
	s_waitcnt vmcnt(0) lgkmcnt(0)
	v_mul_f32_e32 v5, v11, v9
	v_mul_f32_e32 v11, v11, v8
	v_fma_f32 v8, v8, -v10, -v5
	v_fma_f32 v10, v10, v9, -v11
                                        ; implicit-def: $vgpr5
	s_and_saveexec_b64 s[36:37], s[6:7]
	s_xor_b64 s[36:37], exec, s[36:37]
	s_cbranch_execnz .LBB2_24
; %bb.22:                               ;   in Loop: Header=BB2_6 Depth=1
	s_or_saveexec_b64 s[36:37], s[36:37]
	v_mov_b32_e32 v12, v16
	s_xor_b64 exec, exec, s[36:37]
	s_cbranch_execnz .LBB2_34
.LBB2_23:                               ;   in Loop: Header=BB2_6 Depth=1
	s_or_b64 exec, exec, s[36:37]
	s_and_b64 exec, exec, s[38:39]
	s_cbranch_execz .LBB2_5
	s_branch .LBB2_35
.LBB2_24:                               ;   in Loop: Header=BB2_6 Depth=1
	s_mul_i32 s27, s3, s33
	v_mov_b32_e32 v9, v8
	v_mov_b32_e32 v11, v10
	;; [unrolled: 1-line block ×3, first 2 shown]
	v_mov_b64_e32 v[12:13], v[0:1]
	s_and_saveexec_b64 s[38:39], s[8:9]
	s_cbranch_execz .LBB2_28
; %bb.25:                               ;   in Loop: Header=BB2_6 Depth=1
	s_add_i32 s42, s27, 0x200
	s_add_i32 s44, s27, 0x400
	;; [unrolled: 1-line block ×3, first 2 shown]
	s_mov_b32 s43, s42
	s_mov_b32 s45, s44
	;; [unrolled: 1-line block ×4, first 2 shown]
	s_mov_b64 s[40:41], 0
	v_mov_b32_e32 v5, v18
	v_mov_b32_e32 v14, v2
	v_mov_b64_e32 v[12:13], v[0:1]
.LBB2_26:                               ;   Parent Loop BB2_6 Depth=1
                                        ; =>  This Inner Loop Header: Depth=2
	v_add_u32_e32 v24, s27, v12
	v_add_u32_e32 v26, s27, v13
	v_ashrrev_i32_e32 v25, 31, v24
	v_ashrrev_i32_e32 v27, 31, v26
	v_lshl_add_u64 v[28:29], v[24:25], 3, s[16:17]
	v_lshl_add_u64 v[30:31], v[26:27], 3, s[16:17]
	global_load_dwordx2 v[40:41], v[28:29], off
	global_load_dwordx2 v[32:33], v[30:31], off
	ds_read2st64_b64 v[24:27], v14 offset1:4
	v_add_u32_e32 v34, s42, v12
	v_add_u32_e32 v36, s43, v13
	v_ashrrev_i32_e32 v35, 31, v34
	v_ashrrev_i32_e32 v37, 31, v36
	s_waitcnt lgkmcnt(0)
	v_mov_b32_e32 v39, v26
	v_mov_b32_e32 v26, v25
	;; [unrolled: 1-line block ×3, first 2 shown]
	v_pk_mul_f32 v[24:25], v[10:11], v[26:27]
	v_pk_mul_f32 v[26:27], v[8:9], v[26:27]
	v_pk_fma_f32 v[24:25], v[8:9], v[38:39], v[24:25] neg_lo:[0,0,1] neg_hi:[0,0,1]
	v_pk_fma_f32 v[26:27], v[10:11], v[38:39], v[26:27]
	v_lshl_add_u64 v[34:35], v[34:35], 3, s[16:17]
	v_lshl_add_u64 v[36:37], v[36:37], 3, s[16:17]
	v_add_u32_e32 v5, -4, v5
	s_add_i32 s48, s48, 8
	v_cmp_eq_u32_e32 vcc, 0, v5
	v_mov_b32_e32 v15, s48
	s_or_b64 s[40:41], vcc, s[40:41]
	s_waitcnt vmcnt(1)
	v_mov_b32_e32 v38, v40
	s_waitcnt vmcnt(0)
	v_mov_b32_e32 v39, v32
	v_mov_b32_e32 v32, v41
	v_pk_add_f32 v[24:25], v[38:39], v[24:25]
	v_pk_add_f32 v[26:27], v[26:27], v[32:33]
	v_mov_b32_e32 v32, v24
	v_mov_b32_e32 v33, v26
	v_mov_b32_e32 v26, v25
	global_store_dwordx2 v[28:29], v[32:33], off
	global_store_dwordx2 v[30:31], v[26:27], off
	global_load_dwordx2 v[40:41], v[34:35], off
	s_nop 0
	global_load_dwordx2 v[28:29], v[36:37], off
	ds_read2st64_b64 v[24:27], v14 offset0:8 offset1:12
	v_add_u32_e32 v30, s44, v12
	v_add_u32_e32 v32, s45, v13
	v_ashrrev_i32_e32 v31, 31, v30
	v_ashrrev_i32_e32 v33, 31, v32
	s_waitcnt lgkmcnt(0)
	v_mov_b32_e32 v39, v26
	v_mov_b32_e32 v26, v25
	;; [unrolled: 1-line block ×3, first 2 shown]
	v_pk_mul_f32 v[24:25], v[10:11], v[26:27]
	v_pk_mul_f32 v[26:27], v[8:9], v[26:27]
	v_pk_fma_f32 v[24:25], v[8:9], v[38:39], v[24:25] neg_lo:[0,0,1] neg_hi:[0,0,1]
	v_pk_fma_f32 v[26:27], v[10:11], v[38:39], v[26:27]
	v_lshl_add_u64 v[30:31], v[30:31], 3, s[16:17]
	v_lshl_add_u64 v[32:33], v[32:33], 3, s[16:17]
	s_waitcnt vmcnt(1)
	v_mov_b32_e32 v38, v40
	s_waitcnt vmcnt(0)
	v_mov_b32_e32 v39, v28
	v_mov_b32_e32 v28, v41
	v_pk_add_f32 v[24:25], v[38:39], v[24:25]
	v_pk_add_f32 v[26:27], v[26:27], v[28:29]
	v_mov_b32_e32 v28, v24
	v_mov_b32_e32 v29, v26
	;; [unrolled: 1-line block ×3, first 2 shown]
	global_store_dwordx2 v[34:35], v[28:29], off
	global_store_dwordx2 v[36:37], v[26:27], off
	global_load_dwordx2 v[40:41], v[30:31], off
	s_nop 0
	global_load_dwordx2 v[28:29], v[32:33], off
	ds_read2st64_b64 v[24:27], v14 offset0:16 offset1:20
	v_add_u32_e32 v34, s46, v12
	v_add_u32_e32 v36, s47, v13
	v_ashrrev_i32_e32 v35, 31, v34
	v_ashrrev_i32_e32 v37, 31, v36
	s_waitcnt lgkmcnt(0)
	v_mov_b32_e32 v39, v26
	v_mov_b32_e32 v26, v25
	;; [unrolled: 1-line block ×3, first 2 shown]
	v_pk_mul_f32 v[24:25], v[10:11], v[26:27]
	v_pk_mul_f32 v[26:27], v[8:9], v[26:27]
	v_pk_fma_f32 v[24:25], v[8:9], v[38:39], v[24:25] neg_lo:[0,0,1] neg_hi:[0,0,1]
	v_pk_fma_f32 v[26:27], v[10:11], v[38:39], v[26:27]
	v_lshl_add_u64 v[34:35], v[34:35], 3, s[16:17]
	v_lshl_add_u64 v[36:37], v[36:37], 3, s[16:17]
	v_add_u32_e32 v13, 0x800, v13
	v_add_u32_e32 v12, 0x800, v12
	s_waitcnt vmcnt(1)
	v_mov_b32_e32 v38, v40
	s_waitcnt vmcnt(0)
	v_mov_b32_e32 v39, v28
	v_mov_b32_e32 v28, v41
	v_pk_add_f32 v[24:25], v[38:39], v[24:25]
	v_pk_add_f32 v[26:27], v[26:27], v[28:29]
	v_mov_b32_e32 v28, v24
	v_mov_b32_e32 v29, v26
	;; [unrolled: 1-line block ×3, first 2 shown]
	global_store_dwordx2 v[30:31], v[28:29], off
	global_store_dwordx2 v[32:33], v[26:27], off
	global_load_dwordx2 v[32:33], v[34:35], off
	s_nop 0
	global_load_dwordx2 v[28:29], v[36:37], off
	ds_read2st64_b64 v[24:27], v14 offset0:24 offset1:28
	v_add_u32_e32 v14, 0x4000, v14
	s_waitcnt lgkmcnt(0)
	v_mov_b32_e32 v31, v26
	v_mov_b32_e32 v26, v25
	;; [unrolled: 1-line block ×3, first 2 shown]
	v_pk_mul_f32 v[24:25], v[10:11], v[26:27]
	v_pk_mul_f32 v[26:27], v[8:9], v[26:27]
	v_pk_fma_f32 v[24:25], v[8:9], v[30:31], v[24:25] neg_lo:[0,0,1] neg_hi:[0,0,1]
	v_pk_fma_f32 v[26:27], v[10:11], v[30:31], v[26:27]
	s_waitcnt vmcnt(1)
	v_mov_b32_e32 v30, v32
	s_waitcnt vmcnt(0)
	v_mov_b32_e32 v31, v28
	v_mov_b32_e32 v28, v33
	v_pk_add_f32 v[24:25], v[30:31], v[24:25]
	v_pk_add_f32 v[26:27], v[26:27], v[28:29]
	v_mov_b32_e32 v28, v24
	v_mov_b32_e32 v29, v26
	;; [unrolled: 1-line block ×3, first 2 shown]
	global_store_dwordx2 v[34:35], v[28:29], off
	global_store_dwordx2 v[36:37], v[26:27], off
	s_andn2_b64 exec, exec, s[40:41]
	s_cbranch_execnz .LBB2_26
; %bb.27:                               ;   in Loop: Header=BB2_6 Depth=1
	s_or_b64 exec, exec, s[40:41]
.LBB2_28:                               ;   in Loop: Header=BB2_6 Depth=1
	s_or_b64 exec, exec, s[38:39]
	s_and_saveexec_b64 s[38:39], s[10:11]
	s_cbranch_execz .LBB2_31
; %bb.29:                               ;   in Loop: Header=BB2_6 Depth=1
	v_lshl_or_b32 v5, v15, 11, v2
	s_mov_b64 s[40:41], 0
	v_mov_b32_e32 v14, v17
.LBB2_30:                               ;   Parent Loop BB2_6 Depth=1
                                        ; =>  This Inner Loop Header: Depth=2
	v_add_u32_e32 v24, s27, v12
	v_add_u32_e32 v26, s27, v13
	v_ashrrev_i32_e32 v25, 31, v24
	v_ashrrev_i32_e32 v27, 31, v26
	v_lshl_add_u64 v[28:29], v[24:25], 3, s[16:17]
	v_lshl_add_u64 v[30:31], v[26:27], 3, s[16:17]
	global_load_dwordx2 v[36:37], v[28:29], off
	global_load_dwordx2 v[32:33], v[30:31], off
	ds_read2st64_b64 v[24:27], v5 offset1:4
	v_add_u32_e32 v14, -1, v14
	v_cmp_eq_u32_e32 vcc, 0, v14
	v_add_u32_e32 v13, 0x200, v13
	v_add_u32_e32 v12, 0x200, v12
	s_waitcnt lgkmcnt(0)
	v_mov_b32_e32 v35, v26
	v_mov_b32_e32 v26, v25
	;; [unrolled: 1-line block ×3, first 2 shown]
	v_pk_mul_f32 v[24:25], v[10:11], v[26:27]
	v_pk_mul_f32 v[26:27], v[8:9], v[26:27]
	v_pk_fma_f32 v[24:25], v[8:9], v[34:35], v[24:25] neg_lo:[0,0,1] neg_hi:[0,0,1]
	v_pk_fma_f32 v[26:27], v[10:11], v[34:35], v[26:27]
	v_add_u32_e32 v5, 0x1000, v5
	s_or_b64 s[40:41], vcc, s[40:41]
	s_waitcnt vmcnt(1)
	v_mov_b32_e32 v34, v36
	s_waitcnt vmcnt(0)
	v_mov_b32_e32 v35, v32
	v_mov_b32_e32 v32, v37
	v_pk_add_f32 v[24:25], v[34:35], v[24:25]
	v_pk_add_f32 v[26:27], v[26:27], v[32:33]
	v_mov_b32_e32 v32, v24
	v_mov_b32_e32 v33, v26
	;; [unrolled: 1-line block ×3, first 2 shown]
	global_store_dwordx2 v[28:29], v[32:33], off
	global_store_dwordx2 v[30:31], v[26:27], off
	s_andn2_b64 exec, exec, s[40:41]
	s_cbranch_execnz .LBB2_30
.LBB2_31:                               ;   in Loop: Header=BB2_6 Depth=1
	s_or_b64 exec, exec, s[38:39]
	s_mov_b64 s[38:39], 0
                                        ; implicit-def: $vgpr5
	s_and_saveexec_b64 s[40:41], s[12:13]
	s_xor_b64 s[40:41], exec, s[40:41]
; %bb.32:                               ;   in Loop: Header=BB2_6 Depth=1
	s_mov_b64 s[38:39], exec
	v_lshlrev_b32_e32 v5, 3, v16
; %bb.33:                               ;   in Loop: Header=BB2_6 Depth=1
	s_or_b64 exec, exec, s[40:41]
	s_and_b64 s[38:39], s[38:39], exec
	s_or_saveexec_b64 s[36:37], s[36:37]
	v_mov_b32_e32 v12, v16
	s_xor_b64 exec, exec, s[36:37]
	s_cbranch_execz .LBB2_23
.LBB2_34:                               ;   in Loop: Header=BB2_6 Depth=1
	s_or_b64 s[38:39], s[38:39], exec
	v_mov_b32_e32 v12, v0
	v_mov_b32_e32 v5, v2
	s_or_b64 exec, exec, s[36:37]
	s_and_b64 exec, exec, s[38:39]
	s_cbranch_execz .LBB2_5
.LBB2_35:                               ;   in Loop: Header=BB2_6 Depth=1
	s_add_u32 s30, s22, s30
	v_ashrrev_i32_e32 v13, 31, v12
	s_addc_u32 s31, s23, s31
	v_mov_b32_e32 v11, v10
	v_mov_b32_e32 v9, v8
	v_lshl_add_u64 v[14:15], v[12:13], 3, s[30:31]
	s_mov_b64 s[30:31], 0
.LBB2_36:                               ;   Parent Loop BB2_6 Depth=1
                                        ; =>  This Inner Loop Header: Depth=2
	global_load_dwordx2 v[24:25], v[14:15], off
	ds_read_b64 v[26:27], v5
	v_add_u32_e32 v12, 0x100, v12
	v_cmp_le_i32_e32 vcc, s24, v12
	s_or_b64 s[30:31], vcc, s[30:31]
	v_add_u32_e32 v5, 0x800, v5
	s_waitcnt lgkmcnt(0)
	v_pk_mul_f32 v[28:29], v[10:11], v[26:27] op_sel:[0,1] op_sel_hi:[1,0]
	s_nop 0
	v_pk_fma_f32 v[30:31], v[8:9], v[26:27], v[28:29] neg_lo:[0,0,1] neg_hi:[0,0,1]
	v_pk_fma_f32 v[26:27], v[8:9], v[26:27], v[28:29]
	s_nop 0
	v_mov_b32_e32 v31, v27
	s_waitcnt vmcnt(0)
	v_pk_add_f32 v[24:25], v[24:25], v[30:31]
	global_store_dwordx2 v[14:15], v[24:25], off
	v_lshl_add_u64 v[14:15], v[14:15], 0, s[28:29]
	s_andn2_b64 exec, exec, s[30:31]
	s_cbranch_execnz .LBB2_36
	s_branch .LBB2_5
.LBB2_37:
	s_endpgm
	.section	.rodata,"a",@progbits
	.p2align	6, 0x0
	.amdhsa_kernel _ZN9rocsolver6v33100L22larf_left_kernel_smallILi256E19rocblas_complex_numIfEiPS3_EEvT1_S5_T2_lS5_lPKT0_lS6_lS5_l
		.amdhsa_group_segment_fixed_size 18432
		.amdhsa_private_segment_fixed_size 0
		.amdhsa_kernarg_size 88
		.amdhsa_user_sgpr_count 2
		.amdhsa_user_sgpr_dispatch_ptr 0
		.amdhsa_user_sgpr_queue_ptr 0
		.amdhsa_user_sgpr_kernarg_segment_ptr 1
		.amdhsa_user_sgpr_dispatch_id 0
		.amdhsa_user_sgpr_kernarg_preload_length 0
		.amdhsa_user_sgpr_kernarg_preload_offset 0
		.amdhsa_user_sgpr_private_segment_size 0
		.amdhsa_uses_dynamic_stack 0
		.amdhsa_enable_private_segment 0
		.amdhsa_system_sgpr_workgroup_id_x 1
		.amdhsa_system_sgpr_workgroup_id_y 1
		.amdhsa_system_sgpr_workgroup_id_z 0
		.amdhsa_system_sgpr_workgroup_info 0
		.amdhsa_system_vgpr_workitem_id 0
		.amdhsa_next_free_vgpr 42
		.amdhsa_next_free_sgpr 49
		.amdhsa_accum_offset 44
		.amdhsa_reserve_vcc 1
		.amdhsa_float_round_mode_32 0
		.amdhsa_float_round_mode_16_64 0
		.amdhsa_float_denorm_mode_32 3
		.amdhsa_float_denorm_mode_16_64 3
		.amdhsa_dx10_clamp 1
		.amdhsa_ieee_mode 1
		.amdhsa_fp16_overflow 0
		.amdhsa_tg_split 0
		.amdhsa_exception_fp_ieee_invalid_op 0
		.amdhsa_exception_fp_denorm_src 0
		.amdhsa_exception_fp_ieee_div_zero 0
		.amdhsa_exception_fp_ieee_overflow 0
		.amdhsa_exception_fp_ieee_underflow 0
		.amdhsa_exception_fp_ieee_inexact 0
		.amdhsa_exception_int_div_zero 0
	.end_amdhsa_kernel
	.section	.text._ZN9rocsolver6v33100L22larf_left_kernel_smallILi256E19rocblas_complex_numIfEiPS3_EEvT1_S5_T2_lS5_lPKT0_lS6_lS5_l,"axG",@progbits,_ZN9rocsolver6v33100L22larf_left_kernel_smallILi256E19rocblas_complex_numIfEiPS3_EEvT1_S5_T2_lS5_lPKT0_lS6_lS5_l,comdat
.Lfunc_end2:
	.size	_ZN9rocsolver6v33100L22larf_left_kernel_smallILi256E19rocblas_complex_numIfEiPS3_EEvT1_S5_T2_lS5_lPKT0_lS6_lS5_l, .Lfunc_end2-_ZN9rocsolver6v33100L22larf_left_kernel_smallILi256E19rocblas_complex_numIfEiPS3_EEvT1_S5_T2_lS5_lPKT0_lS6_lS5_l
                                        ; -- End function
	.set _ZN9rocsolver6v33100L22larf_left_kernel_smallILi256E19rocblas_complex_numIfEiPS3_EEvT1_S5_T2_lS5_lPKT0_lS6_lS5_l.num_vgpr, 42
	.set _ZN9rocsolver6v33100L22larf_left_kernel_smallILi256E19rocblas_complex_numIfEiPS3_EEvT1_S5_T2_lS5_lPKT0_lS6_lS5_l.num_agpr, 0
	.set _ZN9rocsolver6v33100L22larf_left_kernel_smallILi256E19rocblas_complex_numIfEiPS3_EEvT1_S5_T2_lS5_lPKT0_lS6_lS5_l.numbered_sgpr, 49
	.set _ZN9rocsolver6v33100L22larf_left_kernel_smallILi256E19rocblas_complex_numIfEiPS3_EEvT1_S5_T2_lS5_lPKT0_lS6_lS5_l.num_named_barrier, 0
	.set _ZN9rocsolver6v33100L22larf_left_kernel_smallILi256E19rocblas_complex_numIfEiPS3_EEvT1_S5_T2_lS5_lPKT0_lS6_lS5_l.private_seg_size, 0
	.set _ZN9rocsolver6v33100L22larf_left_kernel_smallILi256E19rocblas_complex_numIfEiPS3_EEvT1_S5_T2_lS5_lPKT0_lS6_lS5_l.uses_vcc, 1
	.set _ZN9rocsolver6v33100L22larf_left_kernel_smallILi256E19rocblas_complex_numIfEiPS3_EEvT1_S5_T2_lS5_lPKT0_lS6_lS5_l.uses_flat_scratch, 0
	.set _ZN9rocsolver6v33100L22larf_left_kernel_smallILi256E19rocblas_complex_numIfEiPS3_EEvT1_S5_T2_lS5_lPKT0_lS6_lS5_l.has_dyn_sized_stack, 0
	.set _ZN9rocsolver6v33100L22larf_left_kernel_smallILi256E19rocblas_complex_numIfEiPS3_EEvT1_S5_T2_lS5_lPKT0_lS6_lS5_l.has_recursion, 0
	.set _ZN9rocsolver6v33100L22larf_left_kernel_smallILi256E19rocblas_complex_numIfEiPS3_EEvT1_S5_T2_lS5_lPKT0_lS6_lS5_l.has_indirect_call, 0
	.section	.AMDGPU.csdata,"",@progbits
; Kernel info:
; codeLenInByte = 2600
; TotalNumSgprs: 55
; NumVgprs: 42
; NumAgprs: 0
; TotalNumVgprs: 42
; ScratchSize: 0
; MemoryBound: 0
; FloatMode: 240
; IeeeMode: 1
; LDSByteSize: 18432 bytes/workgroup (compile time only)
; SGPRBlocks: 6
; VGPRBlocks: 5
; NumSGPRsForWavesPerEU: 55
; NumVGPRsForWavesPerEU: 42
; AccumOffset: 44
; Occupancy: 8
; WaveLimiterHint : 0
; COMPUTE_PGM_RSRC2:SCRATCH_EN: 0
; COMPUTE_PGM_RSRC2:USER_SGPR: 2
; COMPUTE_PGM_RSRC2:TRAP_HANDLER: 0
; COMPUTE_PGM_RSRC2:TGID_X_EN: 1
; COMPUTE_PGM_RSRC2:TGID_Y_EN: 1
; COMPUTE_PGM_RSRC2:TGID_Z_EN: 0
; COMPUTE_PGM_RSRC2:TIDIG_COMP_CNT: 0
; COMPUTE_PGM_RSRC3_GFX90A:ACCUM_OFFSET: 10
; COMPUTE_PGM_RSRC3_GFX90A:TG_SPLIT: 0
	.section	.text._ZN9rocsolver6v33100L22larf_left_kernel_smallILi512E19rocblas_complex_numIfEiPS3_EEvT1_S5_T2_lS5_lPKT0_lS6_lS5_l,"axG",@progbits,_ZN9rocsolver6v33100L22larf_left_kernel_smallILi512E19rocblas_complex_numIfEiPS3_EEvT1_S5_T2_lS5_lPKT0_lS6_lS5_l,comdat
	.globl	_ZN9rocsolver6v33100L22larf_left_kernel_smallILi512E19rocblas_complex_numIfEiPS3_EEvT1_S5_T2_lS5_lPKT0_lS6_lS5_l ; -- Begin function _ZN9rocsolver6v33100L22larf_left_kernel_smallILi512E19rocblas_complex_numIfEiPS3_EEvT1_S5_T2_lS5_lPKT0_lS6_lS5_l
	.p2align	8
	.type	_ZN9rocsolver6v33100L22larf_left_kernel_smallILi512E19rocblas_complex_numIfEiPS3_EEvT1_S5_T2_lS5_lPKT0_lS6_lS5_l,@function
_ZN9rocsolver6v33100L22larf_left_kernel_smallILi512E19rocblas_complex_numIfEiPS3_EEvT1_S5_T2_lS5_lPKT0_lS6_lS5_l: ; @_ZN9rocsolver6v33100L22larf_left_kernel_smallILi512E19rocblas_complex_numIfEiPS3_EEvT1_S5_T2_lS5_lPKT0_lS6_lS5_l
; %bb.0:
	s_load_dwordx2 s[24:25], s[0:1], 0x0
	s_load_dwordx8 s[16:23], s[0:1], 0x20
	s_load_dwordx2 s[4:5], s[0:1], 0x40
	s_ashr_i32 s12, s2, 31
	v_lshlrev_b32_e32 v2, 3, v0
	s_waitcnt lgkmcnt(0)
	v_cmp_gt_i32_e64 s[14:15], s24, v0
	s_and_saveexec_b64 s[6:7], s[14:15]
	s_cbranch_execz .LBB3_3
; %bb.1:
	s_load_dwordx4 s[8:11], s[0:1], 0x8
	s_load_dword s13, s[0:1], 0x18
	s_mul_i32 s26, s16, s12
	s_mul_hi_u32 s27, s16, s2
	s_add_i32 s26, s27, s26
	s_mul_i32 s17, s17, s2
	s_add_i32 s17, s26, s17
	s_mul_i32 s16, s16, s2
	s_lshl_b64 s[16:17], s[16:17], 3
	s_waitcnt lgkmcnt(0)
	s_add_u32 s16, s8, s16
	s_addc_u32 s17, s9, s17
	s_lshl_b64 s[8:9], s[10:11], 3
	s_add_u32 s8, s16, s8
	s_addc_u32 s9, s17, s9
	s_sub_i32 s10, 1, s24
	s_mul_i32 s10, s13, s10
	s_cmp_lt_i32 s13, 1
	s_cselect_b32 s10, s10, 0
	v_mul_lo_u32 v1, v0, s13
	v_add_u32_e32 v4, s10, v1
	s_lshl_b32 s13, s13, 9
	v_lshlrev_b32_e32 v1, 3, v0
	s_mov_b64 s[10:11], 0
	v_mov_b32_e32 v3, v0
.LBB3_2:                                ; =>This Inner Loop Header: Depth=1
	v_ashrrev_i32_e32 v5, 31, v4
	v_lshl_add_u64 v[6:7], v[4:5], 3, s[8:9]
	global_load_dwordx2 v[6:7], v[6:7], off
	v_add_u32_e32 v3, 0x200, v3
	v_cmp_le_i32_e32 vcc, s24, v3
	v_add_u32_e32 v4, s13, v4
	s_or_b64 s[10:11], vcc, s[10:11]
	s_waitcnt vmcnt(0)
	ds_write_b64 v1, v[6:7]
	v_add_u32_e32 v1, 0x1000, v1
	s_andn2_b64 exec, exec, s[10:11]
	s_cbranch_execnz .LBB3_2
.LBB3_3:
	s_or_b64 exec, exec, s[6:7]
	s_cmp_ge_i32 s3, s25
	s_waitcnt lgkmcnt(0)
	s_barrier
	s_cbranch_scc1 .LBB3_37
; %bb.4:
	s_load_dwordx2 s[6:7], s[0:1], 0x50
	s_load_dword s33, s[0:1], 0x48
	v_and_b32_e32 v1, 63, v0
	v_lshrrev_b32_e32 v5, 3, v0
	v_or_b32_e32 v20, 0x4000, v5
	s_waitcnt lgkmcnt(0)
	s_mul_i32 s1, s6, s12
	s_mul_hi_u32 s8, s6, s2
	s_mul_i32 s7, s7, s2
	s_add_i32 s1, s8, s1
	s_mul_i32 s0, s6, s2
	s_add_i32 s1, s1, s7
	s_lshl_b64 s[26:27], s[0:1], 3
	s_add_u32 s0, s22, s26
	s_addc_u32 s1, s23, s27
	s_lshl_b64 s[28:29], s[4:5], 3
	s_add_u32 s16, s0, s28
	s_addc_u32 s17, s1, s29
	s_mul_i32 s0, s20, s12
	s_mul_hi_u32 s1, s20, s2
	s_add_i32 s0, s1, s0
	s_mul_i32 s1, s21, s2
	s_add_i32 s1, s0, s1
	s_mul_i32 s0, s20, s2
	s_lshl_b64 s[0:1], s[0:1], 3
	s_add_u32 s18, s18, s0
	s_addc_u32 s19, s19, s1
	v_cmp_eq_u32_e64 s[0:1], 0, v1
	v_xad_u32 v1, v0, -1, s24
	s_cmp_gt_i32 s24, 1
	v_lshrrev_b32_e32 v3, 9, v1
	s_movk_i32 s2, 0x1ff
	s_cselect_b64 s[20:21], -1, 0
	v_add_u32_e32 v4, 1, v3
	v_cmp_lt_u32_e64 s[6:7], s2, v1
	s_add_u32 s2, s26, s28
	v_add_u32_e32 v3, -1, v3
	v_and_b32_e32 v7, 0xfffffe, v4
	s_addc_u32 s26, s27, s29
	v_lshrrev_b32_e32 v6, 1, v3
	v_cmp_ne_u32_e64 s[12:13], v4, v7
	v_mov_b32_e32 v4, 0
	s_add_u32 s22, s22, s2
	v_add_u32_e32 v6, 1, v6
	v_cmp_lt_u32_e64 s[8:9], 5, v3
	v_mov_b32_e32 v3, v4
	s_addc_u32 s23, s23, s26
	v_lshl_or_b32 v16, v7, 9, v0
	v_and_b32_e32 v17, 3, v6
	v_and_b32_e32 v18, -4, v6
	v_lshl_add_u64 v[6:7], s[22:23], 0, v[2:3]
	v_mbcnt_lo_u32_b32 v3, -1, 0
	v_mbcnt_hi_u32_b32 v3, -1, v3
	v_mov_b32_e32 v5, 0x80
	v_cmp_eq_u32_e64 s[4:5], 0, v0
	v_or_b32_e32 v1, 0x200, v0
	v_cmp_ne_u32_e64 s[10:11], 0, v17
	s_mul_i32 s26, s3, s33
	s_lshl_b32 s2, s33, 6
	s_mov_b64 s[28:29], 0x1000
	v_and_b32_e32 v19, 63, v3
	v_mov_b32_e32 v21, 0x4008
	v_mov_b32_e32 v22, 0x4018
	;; [unrolled: 1-line block ×3, first 2 shown]
	v_lshl_or_b32 v24, v3, 2, v5
	s_branch .LBB3_6
.LBB3_5:                                ;   in Loop: Header=BB3_6 Depth=1
	s_or_b64 exec, exec, s[34:35]
	s_add_i32 s3, s3, 64
	s_add_i32 s26, s26, s2
	s_cmp_ge_i32 s3, s25
	s_cbranch_scc1 .LBB3_37
.LBB3_6:                                ; =>This Loop Header: Depth=1
                                        ;     Child Loop BB3_8 Depth 2
                                        ;     Child Loop BB3_26 Depth 2
                                        ;     Child Loop BB3_30 Depth 2
                                        ;     Child Loop BB3_36 Depth 2
	s_ashr_i32 s27, s26, 31
	v_mov_b32_e32 v5, v4
	s_lshl_b64 s[30:31], s[26:27], 3
	v_mov_b64_e32 v[8:9], v[4:5]
	s_and_saveexec_b64 s[34:35], s[14:15]
	s_cbranch_execz .LBB3_10
; %bb.7:                                ;   in Loop: Header=BB3_6 Depth=1
	v_mov_b32_e32 v8, 0
	v_lshl_add_u64 v[10:11], v[6:7], 0, s[30:31]
	s_mov_b64 s[36:37], 0
	v_mov_b32_e32 v5, v2
	v_mov_b32_e32 v12, v0
	;; [unrolled: 1-line block ×3, first 2 shown]
.LBB3_8:                                ;   Parent Loop BB3_6 Depth=1
                                        ; =>  This Inner Loop Header: Depth=2
	global_load_dwordx2 v[14:15], v[10:11], off
	ds_read_b64 v[26:27], v5
	v_add_u32_e32 v12, 0x200, v12
	v_cmp_le_i32_e32 vcc, s24, v12
	v_add_u32_e32 v5, 0x1000, v5
	v_lshl_add_u64 v[10:11], v[10:11], 0, s[28:29]
	s_waitcnt lgkmcnt(0)
	v_mov_b32_e32 v28, v27
	s_or_b64 s[36:37], vcc, s[36:37]
	s_waitcnt vmcnt(0)
	v_pk_mul_f32 v[30:31], v[14:15], v[26:27] op_sel_hi:[1,0]
	s_nop 0
	v_pk_fma_f32 v[28:29], v[14:15], v[28:29], v[30:31] op_sel:[1,0,0] op_sel_hi:[0,1,1]
	v_pk_fma_f32 v[14:15], v[14:15], v[26:27], v[30:31] op_sel:[1,1,0] op_sel_hi:[0,1,1] neg_lo:[0,0,1] neg_hi:[0,0,1]
	v_mov_b32_e32 v29, v15
	v_pk_add_f32 v[8:9], v[8:9], v[28:29]
	s_andn2_b64 exec, exec, s[36:37]
	s_cbranch_execnz .LBB3_8
; %bb.9:                                ;   in Loop: Header=BB3_6 Depth=1
	s_or_b64 exec, exec, s[36:37]
.LBB3_10:                               ;   in Loop: Header=BB3_6 Depth=1
	s_or_b64 exec, exec, s[34:35]
	s_and_b64 vcc, exec, s[20:21]
	s_cbranch_vccz .LBB3_17
; %bb.11:                               ;   in Loop: Header=BB3_6 Depth=1
	v_cmp_ne_u32_e32 vcc, 63, v19
	s_nop 1
	v_addc_co_u32_e32 v5, vcc, 0, v3, vcc
	v_lshlrev_b32_e32 v5, 2, v5
	ds_bpermute_b32 v10, v5, v8
	ds_bpermute_b32 v11, v5, v9
	v_cmp_gt_u32_e32 vcc, 62, v19
	s_waitcnt lgkmcnt(0)
	v_pk_add_f32 v[10:11], v[8:9], v[10:11]
	v_cndmask_b32_e64 v5, 0, 2, vcc
	v_add_lshl_u32 v5, v5, v3, 2
	ds_bpermute_b32 v12, v5, v10
	ds_bpermute_b32 v13, v5, v11
	v_cmp_gt_u32_e32 vcc, 60, v19
	s_waitcnt lgkmcnt(0)
	v_pk_add_f32 v[10:11], v[10:11], v[12:13]
	v_cndmask_b32_e64 v5, 0, 4, vcc
	v_add_lshl_u32 v5, v5, v3, 2
	;; [unrolled: 7-line block ×4, first 2 shown]
	ds_bpermute_b32 v12, v5, v10
	ds_bpermute_b32 v13, v5, v11
	s_waitcnt lgkmcnt(0)
	v_pk_add_f32 v[10:11], v[10:11], v[12:13]
	ds_bpermute_b32 v12, v24, v10
	ds_bpermute_b32 v13, v24, v11
	s_waitcnt lgkmcnt(0)
	v_pk_add_f32 v[10:11], v[10:11], v[12:13]
	s_and_saveexec_b64 s[34:35], s[0:1]
; %bb.12:                               ;   in Loop: Header=BB3_6 Depth=1
	ds_write2_b32 v20, v10, v11 offset1:1
; %bb.13:                               ;   in Loop: Header=BB3_6 Depth=1
	s_or_b64 exec, exec, s[34:35]
	s_mov_b64 s[36:37], 0
	s_mov_b64 s[34:35], 0
	s_waitcnt lgkmcnt(0)
	s_barrier
                                        ; implicit-def: $vgpr12_vgpr13
	s_and_saveexec_b64 s[38:39], s[4:5]
	s_xor_b64 s[38:39], exec, s[38:39]
	s_cbranch_execz .LBB3_15
; %bb.14:                               ;   in Loop: Header=BB3_6 Depth=1
	ds_read2_b64 v[12:15], v21 offset1:1
	ds_read2_b64 v[26:29], v22 offset1:1
	;; [unrolled: 1-line block ×3, first 2 shown]
	ds_read_b64 v[34:35], v4 offset:16440
	s_mov_b64 s[34:35], exec
	s_waitcnt lgkmcnt(3)
	v_pk_add_f32 v[10:11], v[10:11], v[12:13]
	s_nop 0
	v_pk_add_f32 v[10:11], v[10:11], v[14:15]
	s_waitcnt lgkmcnt(2)
	v_pk_add_f32 v[10:11], v[10:11], v[26:27]
	s_nop 0
	v_pk_add_f32 v[10:11], v[10:11], v[28:29]
	;; [unrolled: 4-line block ×3, first 2 shown]
	s_waitcnt lgkmcnt(0)
	v_pk_add_f32 v[12:13], v[10:11], v[34:35]
.LBB3_15:                               ;   in Loop: Header=BB3_6 Depth=1
	s_or_b64 exec, exec, s[38:39]
	s_and_b64 vcc, exec, s[36:37]
	s_cbranch_vccnz .LBB3_18
.LBB3_16:                               ;   in Loop: Header=BB3_6 Depth=1
	v_mov_b64_e32 v[8:9], v[12:13]
	s_and_saveexec_b64 s[36:37], s[34:35]
	s_cbranch_execnz .LBB3_19
	s_branch .LBB3_20
.LBB3_17:                               ;   in Loop: Header=BB3_6 Depth=1
	s_mov_b64 s[34:35], 0
                                        ; implicit-def: $vgpr12_vgpr13
	s_cbranch_execz .LBB3_16
.LBB3_18:                               ;   in Loop: Header=BB3_6 Depth=1
	s_andn2_b64 s[34:35], s[34:35], exec
	s_and_b64 s[36:37], s[4:5], exec
	s_or_b64 s[34:35], s[34:35], s[36:37]
	s_and_saveexec_b64 s[36:37], s[34:35]
.LBB3_19:                               ;   in Loop: Header=BB3_6 Depth=1
	ds_write_b64 v4, v[8:9] offset:16384
.LBB3_20:                               ;   in Loop: Header=BB3_6 Depth=1
	s_or_b64 exec, exec, s[36:37]
	s_waitcnt lgkmcnt(0)
	s_barrier
	s_and_saveexec_b64 s[34:35], s[14:15]
	s_cbranch_execz .LBB3_5
; %bb.21:                               ;   in Loop: Header=BB3_6 Depth=1
	global_load_dwordx2 v[10:11], v4, s[18:19]
	ds_read_b64 v[8:9], v4 offset:16384
	s_mov_b64 s[38:39], 0
	s_waitcnt vmcnt(0) lgkmcnt(0)
	v_mul_f32_e32 v5, v11, v9
	v_mul_f32_e32 v11, v11, v8
	v_fma_f32 v8, v8, -v10, -v5
	v_fma_f32 v10, v10, v9, -v11
                                        ; implicit-def: $vgpr5
	s_and_saveexec_b64 s[36:37], s[6:7]
	s_xor_b64 s[36:37], exec, s[36:37]
	s_cbranch_execnz .LBB3_24
; %bb.22:                               ;   in Loop: Header=BB3_6 Depth=1
	s_or_saveexec_b64 s[36:37], s[36:37]
	v_mov_b32_e32 v12, v16
	s_xor_b64 exec, exec, s[36:37]
	s_cbranch_execnz .LBB3_34
.LBB3_23:                               ;   in Loop: Header=BB3_6 Depth=1
	s_or_b64 exec, exec, s[36:37]
	s_and_b64 exec, exec, s[38:39]
	s_cbranch_execz .LBB3_5
	s_branch .LBB3_35
.LBB3_24:                               ;   in Loop: Header=BB3_6 Depth=1
	s_mul_i32 s27, s3, s33
	v_mov_b32_e32 v9, v8
	v_mov_b32_e32 v11, v10
	;; [unrolled: 1-line block ×3, first 2 shown]
	v_mov_b64_e32 v[12:13], v[0:1]
	s_and_saveexec_b64 s[38:39], s[8:9]
	s_cbranch_execz .LBB3_28
; %bb.25:                               ;   in Loop: Header=BB3_6 Depth=1
	s_add_i32 s42, s27, 0x400
	s_add_i32 s44, s27, 0x800
	;; [unrolled: 1-line block ×3, first 2 shown]
	s_mov_b32 s43, s42
	s_mov_b32 s45, s44
	;; [unrolled: 1-line block ×4, first 2 shown]
	s_mov_b64 s[40:41], 0
	v_mov_b32_e32 v5, v18
	v_mov_b32_e32 v14, v2
	v_mov_b64_e32 v[12:13], v[0:1]
.LBB3_26:                               ;   Parent Loop BB3_6 Depth=1
                                        ; =>  This Inner Loop Header: Depth=2
	v_add_u32_e32 v26, s27, v12
	v_add_u32_e32 v28, s27, v13
	v_ashrrev_i32_e32 v27, 31, v26
	v_ashrrev_i32_e32 v29, 31, v28
	v_lshl_add_u64 v[30:31], v[26:27], 3, s[16:17]
	v_lshl_add_u64 v[32:33], v[28:29], 3, s[16:17]
	global_load_dwordx2 v[34:35], v[30:31], off
	global_load_dwordx2 v[36:37], v[32:33], off
	ds_read2st64_b64 v[26:29], v14 offset1:8
	v_add_u32_e32 v38, s42, v12
	v_add_u32_e32 v40, s43, v13
	v_ashrrev_i32_e32 v39, 31, v38
	v_ashrrev_i32_e32 v41, 31, v40
	s_waitcnt lgkmcnt(0)
	v_mov_b32_e32 v43, v28
	v_mov_b32_e32 v28, v27
	;; [unrolled: 1-line block ×3, first 2 shown]
	v_pk_mul_f32 v[26:27], v[10:11], v[28:29]
	v_pk_mul_f32 v[28:29], v[8:9], v[28:29]
	v_pk_fma_f32 v[26:27], v[8:9], v[42:43], v[26:27] neg_lo:[0,0,1] neg_hi:[0,0,1]
	v_pk_fma_f32 v[28:29], v[10:11], v[42:43], v[28:29]
	v_lshl_add_u64 v[38:39], v[38:39], 3, s[16:17]
	v_lshl_add_u64 v[40:41], v[40:41], 3, s[16:17]
	v_add_u32_e32 v5, -4, v5
	s_add_i32 s48, s48, 8
	v_cmp_eq_u32_e32 vcc, 0, v5
	v_mov_b32_e32 v15, s48
	s_or_b64 s[40:41], vcc, s[40:41]
	s_waitcnt vmcnt(1)
	v_mov_b32_e32 v42, v34
	s_waitcnt vmcnt(0)
	v_mov_b32_e32 v43, v36
	v_mov_b32_e32 v36, v35
	v_pk_add_f32 v[26:27], v[42:43], v[26:27]
	v_pk_add_f32 v[28:29], v[28:29], v[36:37]
	v_mov_b32_e32 v34, v26
	v_mov_b32_e32 v35, v28
	;; [unrolled: 1-line block ×3, first 2 shown]
	global_store_dwordx2 v[30:31], v[34:35], off
	global_store_dwordx2 v[32:33], v[28:29], off
	global_load_dwordx2 v[30:31], v[38:39], off
	s_nop 0
	global_load_dwordx2 v[32:33], v[40:41], off
	ds_read2st64_b64 v[26:29], v14 offset0:16 offset1:24
	v_add_u32_e32 v34, s44, v12
	v_add_u32_e32 v36, s45, v13
	v_ashrrev_i32_e32 v35, 31, v34
	v_ashrrev_i32_e32 v37, 31, v36
	s_waitcnt lgkmcnt(0)
	v_mov_b32_e32 v43, v28
	v_mov_b32_e32 v28, v27
	;; [unrolled: 1-line block ×3, first 2 shown]
	v_pk_mul_f32 v[26:27], v[10:11], v[28:29]
	v_pk_mul_f32 v[28:29], v[8:9], v[28:29]
	v_pk_fma_f32 v[26:27], v[8:9], v[42:43], v[26:27] neg_lo:[0,0,1] neg_hi:[0,0,1]
	v_pk_fma_f32 v[28:29], v[10:11], v[42:43], v[28:29]
	v_lshl_add_u64 v[34:35], v[34:35], 3, s[16:17]
	v_lshl_add_u64 v[36:37], v[36:37], 3, s[16:17]
	s_waitcnt vmcnt(1)
	v_mov_b32_e32 v42, v30
	s_waitcnt vmcnt(0)
	v_mov_b32_e32 v43, v32
	v_mov_b32_e32 v32, v31
	v_pk_add_f32 v[26:27], v[42:43], v[26:27]
	v_pk_add_f32 v[28:29], v[28:29], v[32:33]
	v_mov_b32_e32 v30, v26
	v_mov_b32_e32 v31, v28
	;; [unrolled: 1-line block ×3, first 2 shown]
	global_store_dwordx2 v[38:39], v[30:31], off
	global_store_dwordx2 v[40:41], v[28:29], off
	global_load_dwordx2 v[30:31], v[34:35], off
	s_nop 0
	global_load_dwordx2 v[32:33], v[36:37], off
	ds_read2st64_b64 v[26:29], v14 offset0:32 offset1:40
	v_add_u32_e32 v38, s46, v12
	v_add_u32_e32 v40, s47, v13
	v_ashrrev_i32_e32 v39, 31, v38
	v_ashrrev_i32_e32 v41, 31, v40
	s_waitcnt lgkmcnt(0)
	v_mov_b32_e32 v43, v28
	v_mov_b32_e32 v28, v27
	;; [unrolled: 1-line block ×3, first 2 shown]
	v_pk_mul_f32 v[26:27], v[10:11], v[28:29]
	v_pk_mul_f32 v[28:29], v[8:9], v[28:29]
	v_pk_fma_f32 v[26:27], v[8:9], v[42:43], v[26:27] neg_lo:[0,0,1] neg_hi:[0,0,1]
	v_pk_fma_f32 v[28:29], v[10:11], v[42:43], v[28:29]
	v_lshl_add_u64 v[38:39], v[38:39], 3, s[16:17]
	v_lshl_add_u64 v[40:41], v[40:41], 3, s[16:17]
	v_add_u32_e32 v13, 0x1000, v13
	v_add_u32_e32 v12, 0x1000, v12
	s_waitcnt vmcnt(1)
	v_mov_b32_e32 v42, v30
	s_waitcnt vmcnt(0)
	v_mov_b32_e32 v43, v32
	v_mov_b32_e32 v32, v31
	v_pk_add_f32 v[26:27], v[42:43], v[26:27]
	v_pk_add_f32 v[28:29], v[28:29], v[32:33]
	v_mov_b32_e32 v30, v26
	v_mov_b32_e32 v31, v28
	;; [unrolled: 1-line block ×3, first 2 shown]
	global_store_dwordx2 v[34:35], v[30:31], off
	global_store_dwordx2 v[36:37], v[28:29], off
	global_load_dwordx2 v[30:31], v[38:39], off
	s_nop 0
	global_load_dwordx2 v[32:33], v[40:41], off
	ds_read2st64_b64 v[26:29], v14 offset0:48 offset1:56
	v_add_u32_e32 v14, 0x8000, v14
	s_waitcnt lgkmcnt(0)
	v_mov_b32_e32 v35, v28
	v_mov_b32_e32 v28, v27
	;; [unrolled: 1-line block ×3, first 2 shown]
	v_pk_mul_f32 v[26:27], v[10:11], v[28:29]
	v_pk_mul_f32 v[28:29], v[8:9], v[28:29]
	v_pk_fma_f32 v[26:27], v[8:9], v[34:35], v[26:27] neg_lo:[0,0,1] neg_hi:[0,0,1]
	v_pk_fma_f32 v[28:29], v[10:11], v[34:35], v[28:29]
	s_waitcnt vmcnt(1)
	v_mov_b32_e32 v34, v30
	s_waitcnt vmcnt(0)
	v_mov_b32_e32 v35, v32
	v_mov_b32_e32 v32, v31
	v_pk_add_f32 v[26:27], v[34:35], v[26:27]
	v_pk_add_f32 v[28:29], v[28:29], v[32:33]
	v_mov_b32_e32 v30, v26
	v_mov_b32_e32 v31, v28
	;; [unrolled: 1-line block ×3, first 2 shown]
	global_store_dwordx2 v[38:39], v[30:31], off
	global_store_dwordx2 v[40:41], v[28:29], off
	s_andn2_b64 exec, exec, s[40:41]
	s_cbranch_execnz .LBB3_26
; %bb.27:                               ;   in Loop: Header=BB3_6 Depth=1
	s_or_b64 exec, exec, s[40:41]
.LBB3_28:                               ;   in Loop: Header=BB3_6 Depth=1
	s_or_b64 exec, exec, s[38:39]
	s_and_saveexec_b64 s[38:39], s[10:11]
	s_cbranch_execz .LBB3_31
; %bb.29:                               ;   in Loop: Header=BB3_6 Depth=1
	v_lshl_or_b32 v5, v15, 12, v2
	s_mov_b64 s[40:41], 0
	v_mov_b32_e32 v14, v17
.LBB3_30:                               ;   Parent Loop BB3_6 Depth=1
                                        ; =>  This Inner Loop Header: Depth=2
	v_add_u32_e32 v26, s27, v12
	v_add_u32_e32 v28, s27, v13
	v_ashrrev_i32_e32 v27, 31, v26
	v_ashrrev_i32_e32 v29, 31, v28
	v_lshl_add_u64 v[30:31], v[26:27], 3, s[16:17]
	v_lshl_add_u64 v[32:33], v[28:29], 3, s[16:17]
	global_load_dwordx2 v[34:35], v[30:31], off
	global_load_dwordx2 v[36:37], v[32:33], off
	ds_read2st64_b64 v[26:29], v5 offset1:8
	v_add_u32_e32 v14, -1, v14
	v_cmp_eq_u32_e32 vcc, 0, v14
	v_add_u32_e32 v13, 0x400, v13
	v_add_u32_e32 v12, 0x400, v12
	s_waitcnt lgkmcnt(0)
	v_mov_b32_e32 v39, v28
	v_mov_b32_e32 v28, v27
	;; [unrolled: 1-line block ×3, first 2 shown]
	v_pk_mul_f32 v[26:27], v[10:11], v[28:29]
	v_pk_mul_f32 v[28:29], v[8:9], v[28:29]
	v_pk_fma_f32 v[26:27], v[8:9], v[38:39], v[26:27] neg_lo:[0,0,1] neg_hi:[0,0,1]
	v_pk_fma_f32 v[28:29], v[10:11], v[38:39], v[28:29]
	v_add_u32_e32 v5, 0x2000, v5
	s_or_b64 s[40:41], vcc, s[40:41]
	s_waitcnt vmcnt(1)
	v_mov_b32_e32 v38, v34
	s_waitcnt vmcnt(0)
	v_mov_b32_e32 v39, v36
	v_mov_b32_e32 v36, v35
	v_pk_add_f32 v[26:27], v[38:39], v[26:27]
	v_pk_add_f32 v[28:29], v[28:29], v[36:37]
	v_mov_b32_e32 v34, v26
	v_mov_b32_e32 v35, v28
	;; [unrolled: 1-line block ×3, first 2 shown]
	global_store_dwordx2 v[30:31], v[34:35], off
	global_store_dwordx2 v[32:33], v[28:29], off
	s_andn2_b64 exec, exec, s[40:41]
	s_cbranch_execnz .LBB3_30
.LBB3_31:                               ;   in Loop: Header=BB3_6 Depth=1
	s_or_b64 exec, exec, s[38:39]
	s_mov_b64 s[38:39], 0
                                        ; implicit-def: $vgpr5
	s_and_saveexec_b64 s[40:41], s[12:13]
	s_xor_b64 s[40:41], exec, s[40:41]
; %bb.32:                               ;   in Loop: Header=BB3_6 Depth=1
	s_mov_b64 s[38:39], exec
	v_lshlrev_b32_e32 v5, 3, v16
; %bb.33:                               ;   in Loop: Header=BB3_6 Depth=1
	s_or_b64 exec, exec, s[40:41]
	s_and_b64 s[38:39], s[38:39], exec
	s_or_saveexec_b64 s[36:37], s[36:37]
	v_mov_b32_e32 v12, v16
	s_xor_b64 exec, exec, s[36:37]
	s_cbranch_execz .LBB3_23
.LBB3_34:                               ;   in Loop: Header=BB3_6 Depth=1
	s_or_b64 s[38:39], s[38:39], exec
	v_mov_b32_e32 v12, v0
	v_mov_b32_e32 v5, v2
	s_or_b64 exec, exec, s[36:37]
	s_and_b64 exec, exec, s[38:39]
	s_cbranch_execz .LBB3_5
.LBB3_35:                               ;   in Loop: Header=BB3_6 Depth=1
	s_add_u32 s30, s22, s30
	v_ashrrev_i32_e32 v13, 31, v12
	s_addc_u32 s31, s23, s31
	v_mov_b32_e32 v11, v10
	v_mov_b32_e32 v9, v8
	v_lshl_add_u64 v[14:15], v[12:13], 3, s[30:31]
	s_mov_b64 s[30:31], 0
.LBB3_36:                               ;   Parent Loop BB3_6 Depth=1
                                        ; =>  This Inner Loop Header: Depth=2
	global_load_dwordx2 v[26:27], v[14:15], off
	ds_read_b64 v[28:29], v5
	v_add_u32_e32 v12, 0x200, v12
	v_cmp_le_i32_e32 vcc, s24, v12
	s_or_b64 s[30:31], vcc, s[30:31]
	v_add_u32_e32 v5, 0x1000, v5
	s_waitcnt lgkmcnt(0)
	v_pk_mul_f32 v[30:31], v[10:11], v[28:29] op_sel:[0,1] op_sel_hi:[1,0]
	s_nop 0
	v_pk_fma_f32 v[32:33], v[8:9], v[28:29], v[30:31] neg_lo:[0,0,1] neg_hi:[0,0,1]
	v_pk_fma_f32 v[28:29], v[8:9], v[28:29], v[30:31]
	s_nop 0
	v_mov_b32_e32 v33, v29
	s_waitcnt vmcnt(0)
	v_pk_add_f32 v[26:27], v[26:27], v[32:33]
	global_store_dwordx2 v[14:15], v[26:27], off
	v_lshl_add_u64 v[14:15], v[14:15], 0, s[28:29]
	s_andn2_b64 exec, exec, s[30:31]
	s_cbranch_execnz .LBB3_36
	s_branch .LBB3_5
.LBB3_37:
	s_endpgm
	.section	.rodata,"a",@progbits
	.p2align	6, 0x0
	.amdhsa_kernel _ZN9rocsolver6v33100L22larf_left_kernel_smallILi512E19rocblas_complex_numIfEiPS3_EEvT1_S5_T2_lS5_lPKT0_lS6_lS5_l
		.amdhsa_group_segment_fixed_size 20480
		.amdhsa_private_segment_fixed_size 0
		.amdhsa_kernarg_size 88
		.amdhsa_user_sgpr_count 2
		.amdhsa_user_sgpr_dispatch_ptr 0
		.amdhsa_user_sgpr_queue_ptr 0
		.amdhsa_user_sgpr_kernarg_segment_ptr 1
		.amdhsa_user_sgpr_dispatch_id 0
		.amdhsa_user_sgpr_kernarg_preload_length 0
		.amdhsa_user_sgpr_kernarg_preload_offset 0
		.amdhsa_user_sgpr_private_segment_size 0
		.amdhsa_uses_dynamic_stack 0
		.amdhsa_enable_private_segment 0
		.amdhsa_system_sgpr_workgroup_id_x 1
		.amdhsa_system_sgpr_workgroup_id_y 1
		.amdhsa_system_sgpr_workgroup_id_z 0
		.amdhsa_system_sgpr_workgroup_info 0
		.amdhsa_system_vgpr_workitem_id 0
		.amdhsa_next_free_vgpr 44
		.amdhsa_next_free_sgpr 49
		.amdhsa_accum_offset 44
		.amdhsa_reserve_vcc 1
		.amdhsa_float_round_mode_32 0
		.amdhsa_float_round_mode_16_64 0
		.amdhsa_float_denorm_mode_32 3
		.amdhsa_float_denorm_mode_16_64 3
		.amdhsa_dx10_clamp 1
		.amdhsa_ieee_mode 1
		.amdhsa_fp16_overflow 0
		.amdhsa_tg_split 0
		.amdhsa_exception_fp_ieee_invalid_op 0
		.amdhsa_exception_fp_denorm_src 0
		.amdhsa_exception_fp_ieee_div_zero 0
		.amdhsa_exception_fp_ieee_overflow 0
		.amdhsa_exception_fp_ieee_underflow 0
		.amdhsa_exception_fp_ieee_inexact 0
		.amdhsa_exception_int_div_zero 0
	.end_amdhsa_kernel
	.section	.text._ZN9rocsolver6v33100L22larf_left_kernel_smallILi512E19rocblas_complex_numIfEiPS3_EEvT1_S5_T2_lS5_lPKT0_lS6_lS5_l,"axG",@progbits,_ZN9rocsolver6v33100L22larf_left_kernel_smallILi512E19rocblas_complex_numIfEiPS3_EEvT1_S5_T2_lS5_lPKT0_lS6_lS5_l,comdat
.Lfunc_end3:
	.size	_ZN9rocsolver6v33100L22larf_left_kernel_smallILi512E19rocblas_complex_numIfEiPS3_EEvT1_S5_T2_lS5_lPKT0_lS6_lS5_l, .Lfunc_end3-_ZN9rocsolver6v33100L22larf_left_kernel_smallILi512E19rocblas_complex_numIfEiPS3_EEvT1_S5_T2_lS5_lPKT0_lS6_lS5_l
                                        ; -- End function
	.set _ZN9rocsolver6v33100L22larf_left_kernel_smallILi512E19rocblas_complex_numIfEiPS3_EEvT1_S5_T2_lS5_lPKT0_lS6_lS5_l.num_vgpr, 44
	.set _ZN9rocsolver6v33100L22larf_left_kernel_smallILi512E19rocblas_complex_numIfEiPS3_EEvT1_S5_T2_lS5_lPKT0_lS6_lS5_l.num_agpr, 0
	.set _ZN9rocsolver6v33100L22larf_left_kernel_smallILi512E19rocblas_complex_numIfEiPS3_EEvT1_S5_T2_lS5_lPKT0_lS6_lS5_l.numbered_sgpr, 49
	.set _ZN9rocsolver6v33100L22larf_left_kernel_smallILi512E19rocblas_complex_numIfEiPS3_EEvT1_S5_T2_lS5_lPKT0_lS6_lS5_l.num_named_barrier, 0
	.set _ZN9rocsolver6v33100L22larf_left_kernel_smallILi512E19rocblas_complex_numIfEiPS3_EEvT1_S5_T2_lS5_lPKT0_lS6_lS5_l.private_seg_size, 0
	.set _ZN9rocsolver6v33100L22larf_left_kernel_smallILi512E19rocblas_complex_numIfEiPS3_EEvT1_S5_T2_lS5_lPKT0_lS6_lS5_l.uses_vcc, 1
	.set _ZN9rocsolver6v33100L22larf_left_kernel_smallILi512E19rocblas_complex_numIfEiPS3_EEvT1_S5_T2_lS5_lPKT0_lS6_lS5_l.uses_flat_scratch, 0
	.set _ZN9rocsolver6v33100L22larf_left_kernel_smallILi512E19rocblas_complex_numIfEiPS3_EEvT1_S5_T2_lS5_lPKT0_lS6_lS5_l.has_dyn_sized_stack, 0
	.set _ZN9rocsolver6v33100L22larf_left_kernel_smallILi512E19rocblas_complex_numIfEiPS3_EEvT1_S5_T2_lS5_lPKT0_lS6_lS5_l.has_recursion, 0
	.set _ZN9rocsolver6v33100L22larf_left_kernel_smallILi512E19rocblas_complex_numIfEiPS3_EEvT1_S5_T2_lS5_lPKT0_lS6_lS5_l.has_indirect_call, 0
	.section	.AMDGPU.csdata,"",@progbits
; Kernel info:
; codeLenInByte = 2692
; TotalNumSgprs: 55
; NumVgprs: 44
; NumAgprs: 0
; TotalNumVgprs: 44
; ScratchSize: 0
; MemoryBound: 0
; FloatMode: 240
; IeeeMode: 1
; LDSByteSize: 20480 bytes/workgroup (compile time only)
; SGPRBlocks: 6
; VGPRBlocks: 5
; NumSGPRsForWavesPerEU: 55
; NumVGPRsForWavesPerEU: 44
; AccumOffset: 44
; Occupancy: 8
; WaveLimiterHint : 0
; COMPUTE_PGM_RSRC2:SCRATCH_EN: 0
; COMPUTE_PGM_RSRC2:USER_SGPR: 2
; COMPUTE_PGM_RSRC2:TRAP_HANDLER: 0
; COMPUTE_PGM_RSRC2:TGID_X_EN: 1
; COMPUTE_PGM_RSRC2:TGID_Y_EN: 1
; COMPUTE_PGM_RSRC2:TGID_Z_EN: 0
; COMPUTE_PGM_RSRC2:TIDIG_COMP_CNT: 0
; COMPUTE_PGM_RSRC3_GFX90A:ACCUM_OFFSET: 10
; COMPUTE_PGM_RSRC3_GFX90A:TG_SPLIT: 0
	.section	.text._ZN9rocsolver6v33100L22larf_left_kernel_smallILi1024E19rocblas_complex_numIfEiPS3_EEvT1_S5_T2_lS5_lPKT0_lS6_lS5_l,"axG",@progbits,_ZN9rocsolver6v33100L22larf_left_kernel_smallILi1024E19rocblas_complex_numIfEiPS3_EEvT1_S5_T2_lS5_lPKT0_lS6_lS5_l,comdat
	.globl	_ZN9rocsolver6v33100L22larf_left_kernel_smallILi1024E19rocblas_complex_numIfEiPS3_EEvT1_S5_T2_lS5_lPKT0_lS6_lS5_l ; -- Begin function _ZN9rocsolver6v33100L22larf_left_kernel_smallILi1024E19rocblas_complex_numIfEiPS3_EEvT1_S5_T2_lS5_lPKT0_lS6_lS5_l
	.p2align	8
	.type	_ZN9rocsolver6v33100L22larf_left_kernel_smallILi1024E19rocblas_complex_numIfEiPS3_EEvT1_S5_T2_lS5_lPKT0_lS6_lS5_l,@function
_ZN9rocsolver6v33100L22larf_left_kernel_smallILi1024E19rocblas_complex_numIfEiPS3_EEvT1_S5_T2_lS5_lPKT0_lS6_lS5_l: ; @_ZN9rocsolver6v33100L22larf_left_kernel_smallILi1024E19rocblas_complex_numIfEiPS3_EEvT1_S5_T2_lS5_lPKT0_lS6_lS5_l
; %bb.0:
	s_load_dwordx2 s[24:25], s[0:1], 0x0
	s_load_dwordx8 s[16:23], s[0:1], 0x20
	s_load_dwordx2 s[4:5], s[0:1], 0x40
	s_ashr_i32 s12, s2, 31
	v_lshlrev_b32_e32 v2, 3, v0
	s_waitcnt lgkmcnt(0)
	v_cmp_gt_i32_e64 s[14:15], s24, v0
	s_and_saveexec_b64 s[6:7], s[14:15]
	s_cbranch_execz .LBB4_3
; %bb.1:
	s_load_dwordx4 s[8:11], s[0:1], 0x8
	s_load_dword s13, s[0:1], 0x18
	s_mul_i32 s26, s16, s12
	s_mul_hi_u32 s27, s16, s2
	s_add_i32 s26, s27, s26
	s_mul_i32 s17, s17, s2
	s_add_i32 s17, s26, s17
	s_mul_i32 s16, s16, s2
	s_lshl_b64 s[16:17], s[16:17], 3
	s_waitcnt lgkmcnt(0)
	s_add_u32 s16, s8, s16
	s_addc_u32 s17, s9, s17
	s_lshl_b64 s[8:9], s[10:11], 3
	s_add_u32 s8, s16, s8
	s_addc_u32 s9, s17, s9
	s_sub_i32 s10, 1, s24
	s_mul_i32 s10, s13, s10
	s_cmp_lt_i32 s13, 1
	s_cselect_b32 s10, s10, 0
	v_mul_lo_u32 v1, v0, s13
	v_add_u32_e32 v4, s10, v1
	s_lshl_b32 s13, s13, 10
	v_lshlrev_b32_e32 v1, 3, v0
	s_mov_b64 s[10:11], 0
	v_mov_b32_e32 v3, v0
.LBB4_2:                                ; =>This Inner Loop Header: Depth=1
	v_ashrrev_i32_e32 v5, 31, v4
	v_lshl_add_u64 v[6:7], v[4:5], 3, s[8:9]
	global_load_dwordx2 v[6:7], v[6:7], off
	v_add_u32_e32 v3, 0x400, v3
	v_cmp_le_i32_e32 vcc, s24, v3
	v_add_u32_e32 v4, s13, v4
	s_or_b64 s[10:11], vcc, s[10:11]
	s_waitcnt vmcnt(0)
	ds_write_b64 v1, v[6:7]
	v_add_u32_e32 v1, 0x2000, v1
	s_andn2_b64 exec, exec, s[10:11]
	s_cbranch_execnz .LBB4_2
.LBB4_3:
	s_or_b64 exec, exec, s[6:7]
	s_cmp_ge_i32 s3, s25
	s_waitcnt lgkmcnt(0)
	s_barrier
	s_cbranch_scc1 .LBB4_37
; %bb.4:
	s_load_dwordx2 s[6:7], s[0:1], 0x50
	s_load_dword s33, s[0:1], 0x48
	v_and_b32_e32 v1, 63, v0
	v_lshrrev_b32_e32 v5, 3, v0
	v_or_b32_e32 v20, 0x4000, v5
	s_waitcnt lgkmcnt(0)
	s_mul_i32 s1, s6, s12
	s_mul_hi_u32 s8, s6, s2
	s_mul_i32 s7, s7, s2
	s_add_i32 s1, s8, s1
	s_mul_i32 s0, s6, s2
	s_add_i32 s1, s1, s7
	s_lshl_b64 s[26:27], s[0:1], 3
	s_add_u32 s0, s22, s26
	s_addc_u32 s1, s23, s27
	s_lshl_b64 s[28:29], s[4:5], 3
	s_add_u32 s16, s0, s28
	s_addc_u32 s17, s1, s29
	s_mul_i32 s0, s20, s12
	s_mul_hi_u32 s1, s20, s2
	s_add_i32 s0, s1, s0
	s_mul_i32 s1, s21, s2
	s_add_i32 s1, s0, s1
	s_mul_i32 s0, s20, s2
	s_lshl_b64 s[0:1], s[0:1], 3
	s_add_u32 s18, s18, s0
	s_addc_u32 s19, s19, s1
	v_cmp_eq_u32_e64 s[0:1], 0, v1
	v_xad_u32 v1, v0, -1, s24
	s_cmp_gt_i32 s24, 1
	v_lshrrev_b32_e32 v3, 10, v1
	s_movk_i32 s2, 0x3ff
	s_cselect_b64 s[20:21], -1, 0
	v_add_u32_e32 v4, 1, v3
	v_cmp_lt_u32_e64 s[6:7], s2, v1
	s_add_u32 s2, s26, s28
	v_add_u32_e32 v3, -1, v3
	v_and_b32_e32 v7, 0x7ffffe, v4
	s_addc_u32 s26, s27, s29
	v_lshrrev_b32_e32 v6, 1, v3
	v_cmp_ne_u32_e64 s[12:13], v4, v7
	v_mov_b32_e32 v4, 0
	s_add_u32 s22, s22, s2
	v_add_u32_e32 v6, 1, v6
	v_cmp_lt_u32_e64 s[8:9], 5, v3
	v_mov_b32_e32 v3, v4
	s_addc_u32 s23, s23, s26
	v_lshl_or_b32 v16, v7, 10, v0
	v_and_b32_e32 v17, 3, v6
	v_and_b32_e32 v18, -4, v6
	v_lshl_add_u64 v[6:7], s[22:23], 0, v[2:3]
	v_mbcnt_lo_u32_b32 v3, -1, 0
	v_mbcnt_hi_u32_b32 v3, -1, v3
	v_mov_b32_e32 v5, 0x80
	v_cmp_eq_u32_e64 s[4:5], 0, v0
	v_or_b32_e32 v1, 0x400, v0
	v_cmp_ne_u32_e64 s[10:11], 0, v17
	s_mul_i32 s26, s3, s33
	s_lshl_b32 s2, s33, 6
	s_mov_b64 s[28:29], 0x2000
	v_and_b32_e32 v19, 63, v3
	v_mov_b32_e32 v21, 0x4008
	v_mov_b32_e32 v22, 0x4018
	;; [unrolled: 1-line block ×7, first 2 shown]
	v_lshl_or_b32 v28, v3, 2, v5
	s_branch .LBB4_6
.LBB4_5:                                ;   in Loop: Header=BB4_6 Depth=1
	s_or_b64 exec, exec, s[34:35]
	s_add_i32 s3, s3, 64
	s_add_i32 s26, s26, s2
	s_cmp_ge_i32 s3, s25
	s_cbranch_scc1 .LBB4_37
.LBB4_6:                                ; =>This Loop Header: Depth=1
                                        ;     Child Loop BB4_8 Depth 2
                                        ;     Child Loop BB4_26 Depth 2
	;; [unrolled: 1-line block ×4, first 2 shown]
	s_ashr_i32 s27, s26, 31
	v_mov_b32_e32 v5, v4
	s_lshl_b64 s[30:31], s[26:27], 3
	v_mov_b64_e32 v[8:9], v[4:5]
	s_and_saveexec_b64 s[34:35], s[14:15]
	s_cbranch_execz .LBB4_10
; %bb.7:                                ;   in Loop: Header=BB4_6 Depth=1
	v_mov_b32_e32 v8, 0
	v_lshl_add_u64 v[10:11], v[6:7], 0, s[30:31]
	s_mov_b64 s[36:37], 0
	v_mov_b32_e32 v5, v2
	v_mov_b32_e32 v12, v0
	;; [unrolled: 1-line block ×3, first 2 shown]
.LBB4_8:                                ;   Parent Loop BB4_6 Depth=1
                                        ; =>  This Inner Loop Header: Depth=2
	global_load_dwordx2 v[14:15], v[10:11], off
	ds_read_b64 v[30:31], v5
	v_add_u32_e32 v12, 0x400, v12
	v_cmp_le_i32_e32 vcc, s24, v12
	v_add_u32_e32 v5, 0x2000, v5
	v_lshl_add_u64 v[10:11], v[10:11], 0, s[28:29]
	s_waitcnt lgkmcnt(0)
	v_mov_b32_e32 v32, v31
	s_or_b64 s[36:37], vcc, s[36:37]
	s_waitcnt vmcnt(0)
	v_pk_mul_f32 v[34:35], v[14:15], v[30:31] op_sel_hi:[1,0]
	s_nop 0
	v_pk_fma_f32 v[32:33], v[14:15], v[32:33], v[34:35] op_sel:[1,0,0] op_sel_hi:[0,1,1]
	v_pk_fma_f32 v[14:15], v[14:15], v[30:31], v[34:35] op_sel:[1,1,0] op_sel_hi:[0,1,1] neg_lo:[0,0,1] neg_hi:[0,0,1]
	v_mov_b32_e32 v33, v15
	v_pk_add_f32 v[8:9], v[8:9], v[32:33]
	s_andn2_b64 exec, exec, s[36:37]
	s_cbranch_execnz .LBB4_8
; %bb.9:                                ;   in Loop: Header=BB4_6 Depth=1
	s_or_b64 exec, exec, s[36:37]
.LBB4_10:                               ;   in Loop: Header=BB4_6 Depth=1
	s_or_b64 exec, exec, s[34:35]
	s_and_b64 vcc, exec, s[20:21]
	s_cbranch_vccz .LBB4_17
; %bb.11:                               ;   in Loop: Header=BB4_6 Depth=1
	v_cmp_ne_u32_e32 vcc, 63, v19
	s_nop 1
	v_addc_co_u32_e32 v5, vcc, 0, v3, vcc
	v_lshlrev_b32_e32 v5, 2, v5
	ds_bpermute_b32 v10, v5, v8
	ds_bpermute_b32 v11, v5, v9
	v_cmp_gt_u32_e32 vcc, 62, v19
	s_waitcnt lgkmcnt(0)
	v_pk_add_f32 v[10:11], v[8:9], v[10:11]
	v_cndmask_b32_e64 v5, 0, 2, vcc
	v_add_lshl_u32 v5, v5, v3, 2
	ds_bpermute_b32 v12, v5, v10
	ds_bpermute_b32 v13, v5, v11
	v_cmp_gt_u32_e32 vcc, 60, v19
	s_waitcnt lgkmcnt(0)
	v_pk_add_f32 v[10:11], v[10:11], v[12:13]
	v_cndmask_b32_e64 v5, 0, 4, vcc
	v_add_lshl_u32 v5, v5, v3, 2
	;; [unrolled: 7-line block ×4, first 2 shown]
	ds_bpermute_b32 v12, v5, v10
	ds_bpermute_b32 v13, v5, v11
	s_waitcnt lgkmcnt(0)
	v_pk_add_f32 v[10:11], v[10:11], v[12:13]
	ds_bpermute_b32 v12, v28, v10
	ds_bpermute_b32 v13, v28, v11
	s_waitcnt lgkmcnt(0)
	v_pk_add_f32 v[10:11], v[10:11], v[12:13]
	s_and_saveexec_b64 s[34:35], s[0:1]
; %bb.12:                               ;   in Loop: Header=BB4_6 Depth=1
	ds_write2_b32 v20, v10, v11 offset1:1
; %bb.13:                               ;   in Loop: Header=BB4_6 Depth=1
	s_or_b64 exec, exec, s[34:35]
	s_mov_b64 s[36:37], 0
	s_mov_b64 s[34:35], 0
	s_waitcnt lgkmcnt(0)
	s_barrier
                                        ; implicit-def: $vgpr12_vgpr13
	s_and_saveexec_b64 s[38:39], s[4:5]
	s_xor_b64 s[38:39], exec, s[38:39]
	s_cbranch_execz .LBB4_15
; %bb.14:                               ;   in Loop: Header=BB4_6 Depth=1
	ds_read2_b64 v[12:15], v21 offset1:1
	ds_read2_b64 v[30:33], v22 offset1:1
	;; [unrolled: 1-line block ×3, first 2 shown]
	ds_read_b64 v[38:39], v4 offset:16504
	s_mov_b64 s[34:35], exec
	s_waitcnt lgkmcnt(3)
	v_pk_add_f32 v[10:11], v[10:11], v[12:13]
	s_nop 0
	v_pk_add_f32 v[10:11], v[10:11], v[14:15]
	s_waitcnt lgkmcnt(2)
	v_pk_add_f32 v[14:15], v[10:11], v[30:31]
	ds_read2_b64 v[10:13], v24 offset1:1
	v_pk_add_f32 v[14:15], v[14:15], v[32:33]
	ds_read2_b64 v[30:33], v25 offset1:1
	s_waitcnt lgkmcnt(3)
	v_pk_add_f32 v[14:15], v[14:15], v[34:35]
	s_nop 0
	v_pk_add_f32 v[14:15], v[14:15], v[36:37]
	ds_read2_b64 v[34:37], v26 offset1:1
	s_waitcnt lgkmcnt(2)
	v_pk_add_f32 v[10:11], v[14:15], v[10:11]
	s_nop 0
	;; [unrolled: 5-line block ×3, first 2 shown]
	v_pk_add_f32 v[14:15], v[14:15], v[32:33]
	s_waitcnt lgkmcnt(1)
	v_pk_add_f32 v[14:15], v[14:15], v[34:35]
	s_nop 0
	v_pk_add_f32 v[14:15], v[14:15], v[36:37]
	s_waitcnt lgkmcnt(0)
	v_pk_add_f32 v[10:11], v[14:15], v[10:11]
	s_nop 0
	v_pk_add_f32 v[10:11], v[10:11], v[12:13]
	s_nop 0
	v_pk_add_f32 v[12:13], v[10:11], v[38:39]
.LBB4_15:                               ;   in Loop: Header=BB4_6 Depth=1
	s_or_b64 exec, exec, s[38:39]
	s_and_b64 vcc, exec, s[36:37]
	s_cbranch_vccnz .LBB4_18
.LBB4_16:                               ;   in Loop: Header=BB4_6 Depth=1
	v_mov_b64_e32 v[8:9], v[12:13]
	s_and_saveexec_b64 s[36:37], s[34:35]
	s_cbranch_execnz .LBB4_19
	s_branch .LBB4_20
.LBB4_17:                               ;   in Loop: Header=BB4_6 Depth=1
	s_mov_b64 s[34:35], 0
                                        ; implicit-def: $vgpr12_vgpr13
	s_cbranch_execz .LBB4_16
.LBB4_18:                               ;   in Loop: Header=BB4_6 Depth=1
	s_andn2_b64 s[34:35], s[34:35], exec
	s_and_b64 s[36:37], s[4:5], exec
	s_or_b64 s[34:35], s[34:35], s[36:37]
	s_and_saveexec_b64 s[36:37], s[34:35]
.LBB4_19:                               ;   in Loop: Header=BB4_6 Depth=1
	ds_write_b64 v4, v[8:9] offset:16384
.LBB4_20:                               ;   in Loop: Header=BB4_6 Depth=1
	s_or_b64 exec, exec, s[36:37]
	s_waitcnt lgkmcnt(0)
	s_barrier
	s_and_saveexec_b64 s[34:35], s[14:15]
	s_cbranch_execz .LBB4_5
; %bb.21:                               ;   in Loop: Header=BB4_6 Depth=1
	global_load_dwordx2 v[10:11], v4, s[18:19]
	ds_read_b64 v[8:9], v4 offset:16384
	s_mov_b64 s[38:39], 0
	s_waitcnt vmcnt(0) lgkmcnt(0)
	v_mul_f32_e32 v5, v11, v9
	v_mul_f32_e32 v11, v11, v8
	v_fma_f32 v8, v8, -v10, -v5
	v_fma_f32 v10, v10, v9, -v11
                                        ; implicit-def: $vgpr5
	s_and_saveexec_b64 s[36:37], s[6:7]
	s_xor_b64 s[36:37], exec, s[36:37]
	s_cbranch_execnz .LBB4_24
; %bb.22:                               ;   in Loop: Header=BB4_6 Depth=1
	s_or_saveexec_b64 s[36:37], s[36:37]
	v_mov_b32_e32 v12, v16
	s_xor_b64 exec, exec, s[36:37]
	s_cbranch_execnz .LBB4_34
.LBB4_23:                               ;   in Loop: Header=BB4_6 Depth=1
	s_or_b64 exec, exec, s[36:37]
	s_and_b64 exec, exec, s[38:39]
	s_cbranch_execz .LBB4_5
	s_branch .LBB4_35
.LBB4_24:                               ;   in Loop: Header=BB4_6 Depth=1
	s_mul_i32 s27, s3, s33
	v_mov_b32_e32 v9, v8
	v_mov_b32_e32 v11, v10
	;; [unrolled: 1-line block ×3, first 2 shown]
	v_mov_b64_e32 v[12:13], v[0:1]
	s_and_saveexec_b64 s[38:39], s[8:9]
	s_cbranch_execz .LBB4_28
; %bb.25:                               ;   in Loop: Header=BB4_6 Depth=1
	s_add_i32 s42, s27, 0x800
	s_add_i32 s44, s27, 0x1000
	;; [unrolled: 1-line block ×3, first 2 shown]
	s_mov_b32 s43, s42
	s_mov_b32 s45, s44
	;; [unrolled: 1-line block ×4, first 2 shown]
	s_mov_b64 s[40:41], 0
	v_mov_b32_e32 v5, v18
	v_mov_b32_e32 v14, v2
	v_mov_b64_e32 v[12:13], v[0:1]
.LBB4_26:                               ;   Parent Loop BB4_6 Depth=1
                                        ; =>  This Inner Loop Header: Depth=2
	v_add_u32_e32 v30, s27, v12
	v_add_u32_e32 v32, s27, v13
	v_ashrrev_i32_e32 v31, 31, v30
	v_ashrrev_i32_e32 v33, 31, v32
	v_lshl_add_u64 v[34:35], v[30:31], 3, s[16:17]
	v_lshl_add_u64 v[36:37], v[32:33], 3, s[16:17]
	global_load_dwordx2 v[38:39], v[34:35], off
	global_load_dwordx2 v[40:41], v[36:37], off
	ds_read2st64_b64 v[30:33], v14 offset1:16
	v_add_u32_e32 v42, s42, v12
	v_add_u32_e32 v44, s43, v13
	v_ashrrev_i32_e32 v43, 31, v42
	v_ashrrev_i32_e32 v45, 31, v44
	s_waitcnt lgkmcnt(0)
	v_mov_b32_e32 v47, v32
	v_mov_b32_e32 v32, v31
	v_mov_b32_e32 v46, v30
	v_pk_mul_f32 v[30:31], v[10:11], v[32:33]
	v_pk_mul_f32 v[32:33], v[8:9], v[32:33]
	v_pk_fma_f32 v[30:31], v[8:9], v[46:47], v[30:31] neg_lo:[0,0,1] neg_hi:[0,0,1]
	v_pk_fma_f32 v[32:33], v[10:11], v[46:47], v[32:33]
	v_lshl_add_u64 v[42:43], v[42:43], 3, s[16:17]
	v_lshl_add_u64 v[44:45], v[44:45], 3, s[16:17]
	v_add_u32_e32 v5, -4, v5
	s_add_i32 s48, s48, 8
	v_cmp_eq_u32_e32 vcc, 0, v5
	v_mov_b32_e32 v15, s48
	s_or_b64 s[40:41], vcc, s[40:41]
	s_waitcnt vmcnt(1)
	v_mov_b32_e32 v46, v38
	s_waitcnt vmcnt(0)
	v_mov_b32_e32 v47, v40
	v_mov_b32_e32 v40, v39
	v_pk_add_f32 v[30:31], v[46:47], v[30:31]
	v_pk_add_f32 v[32:33], v[32:33], v[40:41]
	v_mov_b32_e32 v38, v30
	v_mov_b32_e32 v39, v32
	;; [unrolled: 1-line block ×3, first 2 shown]
	global_store_dwordx2 v[34:35], v[38:39], off
	global_store_dwordx2 v[36:37], v[32:33], off
	global_load_dwordx2 v[34:35], v[42:43], off
	s_nop 0
	global_load_dwordx2 v[36:37], v[44:45], off
	ds_read2st64_b64 v[30:33], v14 offset0:32 offset1:48
	v_add_u32_e32 v38, s44, v12
	v_add_u32_e32 v40, s45, v13
	v_ashrrev_i32_e32 v39, 31, v38
	v_ashrrev_i32_e32 v41, 31, v40
	s_waitcnt lgkmcnt(0)
	v_mov_b32_e32 v47, v32
	v_mov_b32_e32 v32, v31
	;; [unrolled: 1-line block ×3, first 2 shown]
	v_pk_mul_f32 v[30:31], v[10:11], v[32:33]
	v_pk_mul_f32 v[32:33], v[8:9], v[32:33]
	v_pk_fma_f32 v[30:31], v[8:9], v[46:47], v[30:31] neg_lo:[0,0,1] neg_hi:[0,0,1]
	v_pk_fma_f32 v[32:33], v[10:11], v[46:47], v[32:33]
	v_lshl_add_u64 v[38:39], v[38:39], 3, s[16:17]
	v_lshl_add_u64 v[40:41], v[40:41], 3, s[16:17]
	s_waitcnt vmcnt(1)
	v_mov_b32_e32 v46, v34
	s_waitcnt vmcnt(0)
	v_mov_b32_e32 v47, v36
	v_mov_b32_e32 v36, v35
	v_pk_add_f32 v[30:31], v[46:47], v[30:31]
	v_pk_add_f32 v[32:33], v[32:33], v[36:37]
	v_mov_b32_e32 v34, v30
	v_mov_b32_e32 v35, v32
	;; [unrolled: 1-line block ×3, first 2 shown]
	global_store_dwordx2 v[42:43], v[34:35], off
	global_store_dwordx2 v[44:45], v[32:33], off
	global_load_dwordx2 v[34:35], v[38:39], off
	s_nop 0
	global_load_dwordx2 v[36:37], v[40:41], off
	ds_read2st64_b64 v[30:33], v14 offset0:64 offset1:80
	v_add_u32_e32 v42, s46, v12
	v_add_u32_e32 v44, s47, v13
	v_ashrrev_i32_e32 v43, 31, v42
	v_ashrrev_i32_e32 v45, 31, v44
	s_waitcnt lgkmcnt(0)
	v_mov_b32_e32 v47, v32
	v_mov_b32_e32 v32, v31
	;; [unrolled: 1-line block ×3, first 2 shown]
	v_pk_mul_f32 v[30:31], v[10:11], v[32:33]
	v_pk_mul_f32 v[32:33], v[8:9], v[32:33]
	v_pk_fma_f32 v[30:31], v[8:9], v[46:47], v[30:31] neg_lo:[0,0,1] neg_hi:[0,0,1]
	v_pk_fma_f32 v[32:33], v[10:11], v[46:47], v[32:33]
	v_lshl_add_u64 v[42:43], v[42:43], 3, s[16:17]
	v_lshl_add_u64 v[44:45], v[44:45], 3, s[16:17]
	v_add_u32_e32 v13, 0x2000, v13
	v_add_u32_e32 v12, 0x2000, v12
	s_waitcnt vmcnt(1)
	v_mov_b32_e32 v46, v34
	s_waitcnt vmcnt(0)
	v_mov_b32_e32 v47, v36
	v_mov_b32_e32 v36, v35
	v_pk_add_f32 v[30:31], v[46:47], v[30:31]
	v_pk_add_f32 v[32:33], v[32:33], v[36:37]
	v_mov_b32_e32 v34, v30
	v_mov_b32_e32 v35, v32
	;; [unrolled: 1-line block ×3, first 2 shown]
	global_store_dwordx2 v[38:39], v[34:35], off
	global_store_dwordx2 v[40:41], v[32:33], off
	global_load_dwordx2 v[34:35], v[42:43], off
	s_nop 0
	global_load_dwordx2 v[36:37], v[44:45], off
	ds_read2st64_b64 v[30:33], v14 offset0:96 offset1:112
	v_add_u32_e32 v14, 0x10000, v14
	s_waitcnt lgkmcnt(0)
	v_mov_b32_e32 v39, v32
	v_mov_b32_e32 v32, v31
	;; [unrolled: 1-line block ×3, first 2 shown]
	v_pk_mul_f32 v[30:31], v[10:11], v[32:33]
	v_pk_mul_f32 v[32:33], v[8:9], v[32:33]
	v_pk_fma_f32 v[30:31], v[8:9], v[38:39], v[30:31] neg_lo:[0,0,1] neg_hi:[0,0,1]
	v_pk_fma_f32 v[32:33], v[10:11], v[38:39], v[32:33]
	s_waitcnt vmcnt(1)
	v_mov_b32_e32 v38, v34
	s_waitcnt vmcnt(0)
	v_mov_b32_e32 v39, v36
	v_mov_b32_e32 v36, v35
	v_pk_add_f32 v[30:31], v[38:39], v[30:31]
	v_pk_add_f32 v[32:33], v[32:33], v[36:37]
	v_mov_b32_e32 v34, v30
	v_mov_b32_e32 v35, v32
	v_mov_b32_e32 v32, v31
	global_store_dwordx2 v[42:43], v[34:35], off
	global_store_dwordx2 v[44:45], v[32:33], off
	s_andn2_b64 exec, exec, s[40:41]
	s_cbranch_execnz .LBB4_26
; %bb.27:                               ;   in Loop: Header=BB4_6 Depth=1
	s_or_b64 exec, exec, s[40:41]
.LBB4_28:                               ;   in Loop: Header=BB4_6 Depth=1
	s_or_b64 exec, exec, s[38:39]
	s_and_saveexec_b64 s[38:39], s[10:11]
	s_cbranch_execz .LBB4_31
; %bb.29:                               ;   in Loop: Header=BB4_6 Depth=1
	v_lshl_or_b32 v5, v15, 13, v2
	s_mov_b64 s[40:41], 0
	v_mov_b32_e32 v14, v17
.LBB4_30:                               ;   Parent Loop BB4_6 Depth=1
                                        ; =>  This Inner Loop Header: Depth=2
	v_add_u32_e32 v30, s27, v12
	v_add_u32_e32 v32, s27, v13
	v_ashrrev_i32_e32 v31, 31, v30
	v_ashrrev_i32_e32 v33, 31, v32
	v_lshl_add_u64 v[34:35], v[30:31], 3, s[16:17]
	v_lshl_add_u64 v[36:37], v[32:33], 3, s[16:17]
	global_load_dwordx2 v[38:39], v[34:35], off
	global_load_dwordx2 v[40:41], v[36:37], off
	ds_read2st64_b64 v[30:33], v5 offset1:16
	v_add_u32_e32 v14, -1, v14
	v_cmp_eq_u32_e32 vcc, 0, v14
	v_add_u32_e32 v13, 0x800, v13
	v_add_u32_e32 v12, 0x800, v12
	s_waitcnt lgkmcnt(0)
	v_mov_b32_e32 v43, v32
	v_mov_b32_e32 v32, v31
	;; [unrolled: 1-line block ×3, first 2 shown]
	v_pk_mul_f32 v[30:31], v[10:11], v[32:33]
	v_pk_mul_f32 v[32:33], v[8:9], v[32:33]
	v_pk_fma_f32 v[30:31], v[8:9], v[42:43], v[30:31] neg_lo:[0,0,1] neg_hi:[0,0,1]
	v_pk_fma_f32 v[32:33], v[10:11], v[42:43], v[32:33]
	v_add_u32_e32 v5, 0x4000, v5
	s_or_b64 s[40:41], vcc, s[40:41]
	s_waitcnt vmcnt(1)
	v_mov_b32_e32 v42, v38
	s_waitcnt vmcnt(0)
	v_mov_b32_e32 v43, v40
	v_mov_b32_e32 v40, v39
	v_pk_add_f32 v[30:31], v[42:43], v[30:31]
	v_pk_add_f32 v[32:33], v[32:33], v[40:41]
	v_mov_b32_e32 v38, v30
	v_mov_b32_e32 v39, v32
	;; [unrolled: 1-line block ×3, first 2 shown]
	global_store_dwordx2 v[34:35], v[38:39], off
	global_store_dwordx2 v[36:37], v[32:33], off
	s_andn2_b64 exec, exec, s[40:41]
	s_cbranch_execnz .LBB4_30
.LBB4_31:                               ;   in Loop: Header=BB4_6 Depth=1
	s_or_b64 exec, exec, s[38:39]
	s_mov_b64 s[38:39], 0
                                        ; implicit-def: $vgpr5
	s_and_saveexec_b64 s[40:41], s[12:13]
	s_xor_b64 s[40:41], exec, s[40:41]
; %bb.32:                               ;   in Loop: Header=BB4_6 Depth=1
	s_mov_b64 s[38:39], exec
	v_lshlrev_b32_e32 v5, 3, v16
; %bb.33:                               ;   in Loop: Header=BB4_6 Depth=1
	s_or_b64 exec, exec, s[40:41]
	s_and_b64 s[38:39], s[38:39], exec
	s_or_saveexec_b64 s[36:37], s[36:37]
	v_mov_b32_e32 v12, v16
	s_xor_b64 exec, exec, s[36:37]
	s_cbranch_execz .LBB4_23
.LBB4_34:                               ;   in Loop: Header=BB4_6 Depth=1
	s_or_b64 s[38:39], s[38:39], exec
	v_mov_b32_e32 v12, v0
	v_mov_b32_e32 v5, v2
	s_or_b64 exec, exec, s[36:37]
	s_and_b64 exec, exec, s[38:39]
	s_cbranch_execz .LBB4_5
.LBB4_35:                               ;   in Loop: Header=BB4_6 Depth=1
	s_add_u32 s30, s22, s30
	v_ashrrev_i32_e32 v13, 31, v12
	s_addc_u32 s31, s23, s31
	v_mov_b32_e32 v11, v10
	v_mov_b32_e32 v9, v8
	v_lshl_add_u64 v[14:15], v[12:13], 3, s[30:31]
	s_mov_b64 s[30:31], 0
.LBB4_36:                               ;   Parent Loop BB4_6 Depth=1
                                        ; =>  This Inner Loop Header: Depth=2
	global_load_dwordx2 v[30:31], v[14:15], off
	ds_read_b64 v[32:33], v5
	v_add_u32_e32 v12, 0x400, v12
	v_cmp_le_i32_e32 vcc, s24, v12
	s_or_b64 s[30:31], vcc, s[30:31]
	v_add_u32_e32 v5, 0x2000, v5
	s_waitcnt lgkmcnt(0)
	v_pk_mul_f32 v[34:35], v[10:11], v[32:33] op_sel:[0,1] op_sel_hi:[1,0]
	s_nop 0
	v_pk_fma_f32 v[36:37], v[8:9], v[32:33], v[34:35] neg_lo:[0,0,1] neg_hi:[0,0,1]
	v_pk_fma_f32 v[32:33], v[8:9], v[32:33], v[34:35]
	s_nop 0
	v_mov_b32_e32 v37, v33
	s_waitcnt vmcnt(0)
	v_pk_add_f32 v[30:31], v[30:31], v[36:37]
	global_store_dwordx2 v[14:15], v[30:31], off
	v_lshl_add_u64 v[14:15], v[14:15], 0, s[28:29]
	s_andn2_b64 exec, exec, s[30:31]
	s_cbranch_execnz .LBB4_36
	s_branch .LBB4_5
.LBB4_37:
	s_endpgm
	.section	.rodata,"a",@progbits
	.p2align	6, 0x0
	.amdhsa_kernel _ZN9rocsolver6v33100L22larf_left_kernel_smallILi1024E19rocblas_complex_numIfEiPS3_EEvT1_S5_T2_lS5_lPKT0_lS6_lS5_l
		.amdhsa_group_segment_fixed_size 24576
		.amdhsa_private_segment_fixed_size 0
		.amdhsa_kernarg_size 88
		.amdhsa_user_sgpr_count 2
		.amdhsa_user_sgpr_dispatch_ptr 0
		.amdhsa_user_sgpr_queue_ptr 0
		.amdhsa_user_sgpr_kernarg_segment_ptr 1
		.amdhsa_user_sgpr_dispatch_id 0
		.amdhsa_user_sgpr_kernarg_preload_length 0
		.amdhsa_user_sgpr_kernarg_preload_offset 0
		.amdhsa_user_sgpr_private_segment_size 0
		.amdhsa_uses_dynamic_stack 0
		.amdhsa_enable_private_segment 0
		.amdhsa_system_sgpr_workgroup_id_x 1
		.amdhsa_system_sgpr_workgroup_id_y 1
		.amdhsa_system_sgpr_workgroup_id_z 0
		.amdhsa_system_sgpr_workgroup_info 0
		.amdhsa_system_vgpr_workitem_id 0
		.amdhsa_next_free_vgpr 48
		.amdhsa_next_free_sgpr 49
		.amdhsa_accum_offset 48
		.amdhsa_reserve_vcc 1
		.amdhsa_float_round_mode_32 0
		.amdhsa_float_round_mode_16_64 0
		.amdhsa_float_denorm_mode_32 3
		.amdhsa_float_denorm_mode_16_64 3
		.amdhsa_dx10_clamp 1
		.amdhsa_ieee_mode 1
		.amdhsa_fp16_overflow 0
		.amdhsa_tg_split 0
		.amdhsa_exception_fp_ieee_invalid_op 0
		.amdhsa_exception_fp_denorm_src 0
		.amdhsa_exception_fp_ieee_div_zero 0
		.amdhsa_exception_fp_ieee_overflow 0
		.amdhsa_exception_fp_ieee_underflow 0
		.amdhsa_exception_fp_ieee_inexact 0
		.amdhsa_exception_int_div_zero 0
	.end_amdhsa_kernel
	.section	.text._ZN9rocsolver6v33100L22larf_left_kernel_smallILi1024E19rocblas_complex_numIfEiPS3_EEvT1_S5_T2_lS5_lPKT0_lS6_lS5_l,"axG",@progbits,_ZN9rocsolver6v33100L22larf_left_kernel_smallILi1024E19rocblas_complex_numIfEiPS3_EEvT1_S5_T2_lS5_lPKT0_lS6_lS5_l,comdat
.Lfunc_end4:
	.size	_ZN9rocsolver6v33100L22larf_left_kernel_smallILi1024E19rocblas_complex_numIfEiPS3_EEvT1_S5_T2_lS5_lPKT0_lS6_lS5_l, .Lfunc_end4-_ZN9rocsolver6v33100L22larf_left_kernel_smallILi1024E19rocblas_complex_numIfEiPS3_EEvT1_S5_T2_lS5_lPKT0_lS6_lS5_l
                                        ; -- End function
	.set _ZN9rocsolver6v33100L22larf_left_kernel_smallILi1024E19rocblas_complex_numIfEiPS3_EEvT1_S5_T2_lS5_lPKT0_lS6_lS5_l.num_vgpr, 48
	.set _ZN9rocsolver6v33100L22larf_left_kernel_smallILi1024E19rocblas_complex_numIfEiPS3_EEvT1_S5_T2_lS5_lPKT0_lS6_lS5_l.num_agpr, 0
	.set _ZN9rocsolver6v33100L22larf_left_kernel_smallILi1024E19rocblas_complex_numIfEiPS3_EEvT1_S5_T2_lS5_lPKT0_lS6_lS5_l.numbered_sgpr, 49
	.set _ZN9rocsolver6v33100L22larf_left_kernel_smallILi1024E19rocblas_complex_numIfEiPS3_EEvT1_S5_T2_lS5_lPKT0_lS6_lS5_l.num_named_barrier, 0
	.set _ZN9rocsolver6v33100L22larf_left_kernel_smallILi1024E19rocblas_complex_numIfEiPS3_EEvT1_S5_T2_lS5_lPKT0_lS6_lS5_l.private_seg_size, 0
	.set _ZN9rocsolver6v33100L22larf_left_kernel_smallILi1024E19rocblas_complex_numIfEiPS3_EEvT1_S5_T2_lS5_lPKT0_lS6_lS5_l.uses_vcc, 1
	.set _ZN9rocsolver6v33100L22larf_left_kernel_smallILi1024E19rocblas_complex_numIfEiPS3_EEvT1_S5_T2_lS5_lPKT0_lS6_lS5_l.uses_flat_scratch, 0
	.set _ZN9rocsolver6v33100L22larf_left_kernel_smallILi1024E19rocblas_complex_numIfEiPS3_EEvT1_S5_T2_lS5_lPKT0_lS6_lS5_l.has_dyn_sized_stack, 0
	.set _ZN9rocsolver6v33100L22larf_left_kernel_smallILi1024E19rocblas_complex_numIfEiPS3_EEvT1_S5_T2_lS5_lPKT0_lS6_lS5_l.has_recursion, 0
	.set _ZN9rocsolver6v33100L22larf_left_kernel_smallILi1024E19rocblas_complex_numIfEiPS3_EEvT1_S5_T2_lS5_lPKT0_lS6_lS5_l.has_indirect_call, 0
	.section	.AMDGPU.csdata,"",@progbits
; Kernel info:
; codeLenInByte = 2848
; TotalNumSgprs: 55
; NumVgprs: 48
; NumAgprs: 0
; TotalNumVgprs: 48
; ScratchSize: 0
; MemoryBound: 0
; FloatMode: 240
; IeeeMode: 1
; LDSByteSize: 24576 bytes/workgroup (compile time only)
; SGPRBlocks: 6
; VGPRBlocks: 5
; NumSGPRsForWavesPerEU: 55
; NumVGPRsForWavesPerEU: 48
; AccumOffset: 48
; Occupancy: 8
; WaveLimiterHint : 0
; COMPUTE_PGM_RSRC2:SCRATCH_EN: 0
; COMPUTE_PGM_RSRC2:USER_SGPR: 2
; COMPUTE_PGM_RSRC2:TRAP_HANDLER: 0
; COMPUTE_PGM_RSRC2:TGID_X_EN: 1
; COMPUTE_PGM_RSRC2:TGID_Y_EN: 1
; COMPUTE_PGM_RSRC2:TGID_Z_EN: 0
; COMPUTE_PGM_RSRC2:TIDIG_COMP_CNT: 0
; COMPUTE_PGM_RSRC3_GFX90A:ACCUM_OFFSET: 11
; COMPUTE_PGM_RSRC3_GFX90A:TG_SPLIT: 0
	.section	.text._ZN9rocsolver6v33100L23larf_right_kernel_smallILi64E19rocblas_complex_numIfEiPS3_EEvT1_S5_T2_lS5_lPKT0_lS6_lS5_l,"axG",@progbits,_ZN9rocsolver6v33100L23larf_right_kernel_smallILi64E19rocblas_complex_numIfEiPS3_EEvT1_S5_T2_lS5_lPKT0_lS6_lS5_l,comdat
	.globl	_ZN9rocsolver6v33100L23larf_right_kernel_smallILi64E19rocblas_complex_numIfEiPS3_EEvT1_S5_T2_lS5_lPKT0_lS6_lS5_l ; -- Begin function _ZN9rocsolver6v33100L23larf_right_kernel_smallILi64E19rocblas_complex_numIfEiPS3_EEvT1_S5_T2_lS5_lPKT0_lS6_lS5_l
	.p2align	8
	.type	_ZN9rocsolver6v33100L23larf_right_kernel_smallILi64E19rocblas_complex_numIfEiPS3_EEvT1_S5_T2_lS5_lPKT0_lS6_lS5_l,@function
_ZN9rocsolver6v33100L23larf_right_kernel_smallILi64E19rocblas_complex_numIfEiPS3_EEvT1_S5_T2_lS5_lPKT0_lS6_lS5_l: ; @_ZN9rocsolver6v33100L23larf_right_kernel_smallILi64E19rocblas_complex_numIfEiPS3_EEvT1_S5_T2_lS5_lPKT0_lS6_lS5_l
; %bb.0:
	s_load_dwordx2 s[16:17], s[0:1], 0x0
	s_load_dwordx8 s[8:15], s[0:1], 0x20
	s_load_dwordx2 s[18:19], s[0:1], 0x40
	s_mov_b32 s6, s3
	s_ashr_i32 s3, s2, 31
	s_waitcnt lgkmcnt(0)
	v_cmp_gt_i32_e64 s[4:5], s17, v0
	v_lshlrev_b32_e32 v1, 3, v0
	s_and_saveexec_b64 s[20:21], s[4:5]
	s_cbranch_execz .LBB5_3
; %bb.1:
	s_load_dwordx4 s[24:27], s[0:1], 0x8
	s_load_dword s7, s[0:1], 0x18
	s_mul_i32 s22, s8, s3
	s_mul_hi_u32 s23, s8, s2
	s_add_i32 s22, s23, s22
	s_mul_i32 s9, s9, s2
	s_add_i32 s9, s22, s9
	s_mul_i32 s8, s8, s2
	s_lshl_b64 s[8:9], s[8:9], 3
	s_waitcnt lgkmcnt(0)
	s_add_u32 s22, s24, s8
	s_addc_u32 s23, s25, s9
	s_lshl_b64 s[8:9], s[26:27], 3
	s_add_u32 s8, s22, s8
	s_addc_u32 s9, s23, s9
	s_sub_i32 s22, 1, s17
	s_mul_i32 s22, s7, s22
	s_cmp_lt_i32 s7, 1
	s_cselect_b32 s22, s22, 0
	v_mul_lo_u32 v2, v0, s7
	v_add_u32_e32 v2, s22, v2
	s_lshl_b32 s7, s7, 6
	v_lshlrev_b32_e32 v4, 3, v0
	s_mov_b64 s[22:23], 0
	v_mov_b32_e32 v5, v0
.LBB5_2:                                ; =>This Inner Loop Header: Depth=1
	v_ashrrev_i32_e32 v3, 31, v2
	v_lshl_add_u64 v[6:7], v[2:3], 3, s[8:9]
	global_load_dwordx2 v[6:7], v[6:7], off
	v_add_u32_e32 v5, 64, v5
	v_cmp_le_i32_e32 vcc, s17, v5
	v_add_u32_e32 v2, s7, v2
	s_or_b64 s[22:23], vcc, s[22:23]
	s_waitcnt vmcnt(0)
	ds_write_b64 v4, v[6:7]
	v_add_u32_e32 v4, 0x200, v4
	s_andn2_b64 exec, exec, s[22:23]
	s_cbranch_execnz .LBB5_2
.LBB5_3:
	s_or_b64 exec, exec, s[20:21]
	s_cmp_ge_i32 s6, s16
	s_waitcnt lgkmcnt(0)
	; wave barrier
	s_cbranch_scc1 .LBB5_21
; %bb.4:
	s_load_dwordx2 s[8:9], s[0:1], 0x50
	s_load_dword s7, s[0:1], 0x48
	v_lshrrev_b32_e32 v3, 3, v0
	v_mbcnt_lo_u32_b32 v4, -1, 0
	v_mbcnt_hi_u32_b32 v11, -1, v4
	s_waitcnt lgkmcnt(0)
	s_mul_i32 s1, s8, s3
	s_mul_hi_u32 s20, s8, s2
	s_mul_i32 s9, s9, s2
	s_add_i32 s1, s20, s1
	s_mul_i32 s0, s8, s2
	s_add_i32 s1, s1, s9
	s_lshl_b64 s[0:1], s[0:1], 3
	s_add_u32 s8, s14, s0
	s_addc_u32 s9, s15, s1
	s_lshl_b64 s[0:1], s[18:19], 3
	s_add_u32 s18, s8, s0
	s_addc_u32 s19, s9, s1
	s_mul_i32 s0, s12, s3
	s_mul_hi_u32 s1, s12, s2
	s_add_i32 s0, s1, s0
	s_mul_i32 s1, s13, s2
	s_add_i32 s1, s0, s1
	s_mul_i32 s0, s12, s2
	s_lshl_b64 s[0:1], s[0:1], 3
	s_add_u32 s0, s10, s0
	s_addc_u32 s1, s11, s1
	s_cmp_gt_i32 s17, 1
	v_or_b32_e32 v13, 0x4000, v3
	v_mov_b32_e32 v3, 0x80
	s_cselect_b64 s[2:3], -1, 0
	v_cmp_eq_u32_e64 s[8:9], 0, v0
	v_mul_lo_u32 v10, v0, s7
	s_lshl_b32 s20, s7, 6
	v_mov_b32_e32 v2, 0
	v_and_b32_e32 v12, 63, v11
	v_lshl_or_b32 v14, v11, 2, v3
	s_branch .LBB5_6
.LBB5_5:                                ;   in Loop: Header=BB5_6 Depth=1
	s_or_b64 exec, exec, s[12:13]
	s_add_i32 s6, s6, 64
	s_cmp_ge_i32 s6, s16
	s_cbranch_scc1 .LBB5_21
.LBB5_6:                                ; =>This Loop Header: Depth=1
                                        ;     Child Loop BB5_8 Depth 2
                                        ;     Child Loop BB5_20 Depth 2
	s_ashr_i32 s7, s6, 31
	s_lshl_b64 s[10:11], s[6:7], 3
	s_add_u32 s10, s18, s10
	v_mov_b32_e32 v3, v2
	s_addc_u32 s11, s19, s11
	v_mov_b64_e32 v[4:5], v[2:3]
	s_and_saveexec_b64 s[12:13], s[4:5]
	s_cbranch_execz .LBB5_10
; %bb.7:                                ;   in Loop: Header=BB5_6 Depth=1
	v_mov_b32_e32 v4, 0
	s_mov_b64 s[14:15], 0
	v_mov_b32_e32 v6, v10
	v_mov_b32_e32 v3, v1
	;; [unrolled: 1-line block ×4, first 2 shown]
.LBB5_8:                                ;   Parent Loop BB5_6 Depth=1
                                        ; =>  This Inner Loop Header: Depth=2
	v_ashrrev_i32_e32 v7, 31, v6
	v_lshl_add_u64 v[16:17], v[6:7], 3, s[10:11]
	global_load_dwordx2 v[16:17], v[16:17], off
	ds_read_b64 v[18:19], v3
	v_add_u32_e32 v8, 64, v8
	v_cmp_le_i32_e32 vcc, s17, v8
	v_add_u32_e32 v3, 0x200, v3
	v_add_u32_e32 v6, s20, v6
	s_or_b64 s[14:15], vcc, s[14:15]
	s_waitcnt vmcnt(0) lgkmcnt(0)
	v_pk_mul_f32 v[20:21], v[16:17], v[18:19] op_sel:[1,1] op_sel_hi:[0,1]
	v_pk_fma_f32 v[22:23], v[16:17], v[18:19], v[20:21] neg_lo:[0,0,1] neg_hi:[0,0,1]
	v_pk_fma_f32 v[16:17], v[16:17], v[18:19], v[20:21] op_sel_hi:[1,0,1]
	s_nop 0
	v_mov_b32_e32 v23, v17
	v_pk_add_f32 v[4:5], v[4:5], v[22:23]
	s_andn2_b64 exec, exec, s[14:15]
	s_cbranch_execnz .LBB5_8
; %bb.9:                                ;   in Loop: Header=BB5_6 Depth=1
	s_or_b64 exec, exec, s[14:15]
.LBB5_10:                               ;   in Loop: Header=BB5_6 Depth=1
	s_or_b64 exec, exec, s[12:13]
	s_and_b64 vcc, exec, s[2:3]
	s_cbranch_vccz .LBB5_15
; %bb.11:                               ;   in Loop: Header=BB5_6 Depth=1
	v_cmp_ne_u32_e32 vcc, 63, v12
	s_nop 1
	v_addc_co_u32_e32 v3, vcc, 0, v11, vcc
	v_lshlrev_b32_e32 v3, 2, v3
	ds_bpermute_b32 v6, v3, v4
	ds_bpermute_b32 v7, v3, v5
	v_cmp_gt_u32_e32 vcc, 62, v12
	s_waitcnt lgkmcnt(0)
	v_pk_add_f32 v[6:7], v[4:5], v[6:7]
	v_cndmask_b32_e64 v3, 0, 2, vcc
	v_add_lshl_u32 v3, v3, v11, 2
	ds_bpermute_b32 v8, v3, v6
	ds_bpermute_b32 v9, v3, v7
	v_cmp_gt_u32_e32 vcc, 60, v12
	s_waitcnt lgkmcnt(0)
	v_pk_add_f32 v[6:7], v[6:7], v[8:9]
	v_cndmask_b32_e64 v3, 0, 4, vcc
	v_add_lshl_u32 v3, v3, v11, 2
	;; [unrolled: 7-line block ×4, first 2 shown]
	ds_bpermute_b32 v8, v3, v6
	ds_bpermute_b32 v9, v3, v7
	s_waitcnt lgkmcnt(0)
	v_pk_add_f32 v[6:7], v[6:7], v[8:9]
	ds_bpermute_b32 v8, v14, v6
	ds_bpermute_b32 v9, v14, v7
	s_waitcnt lgkmcnt(0)
	v_pk_add_f32 v[6:7], v[6:7], v[8:9]
	s_and_saveexec_b64 s[12:13], s[8:9]
; %bb.12:                               ;   in Loop: Header=BB5_6 Depth=1
	ds_write2_b32 v13, v6, v7 offset1:1
; %bb.13:                               ;   in Loop: Header=BB5_6 Depth=1
	s_or_b64 exec, exec, s[12:13]
	s_waitcnt lgkmcnt(0)
	; wave barrier
	s_mov_b64 s[12:13], s[8:9]
.LBB5_14:                               ;   in Loop: Header=BB5_6 Depth=1
	v_mov_b64_e32 v[4:5], v[6:7]
	s_and_saveexec_b64 s[14:15], s[12:13]
	s_cbranch_execnz .LBB5_17
	s_branch .LBB5_18
.LBB5_15:                               ;   in Loop: Header=BB5_6 Depth=1
	s_mov_b64 s[12:13], 0
                                        ; implicit-def: $vgpr6_vgpr7
	s_cbranch_execz .LBB5_14
; %bb.16:                               ;   in Loop: Header=BB5_6 Depth=1
	s_andn2_b64 s[12:13], s[12:13], exec
	s_and_b64 s[14:15], s[8:9], exec
	s_or_b64 s[12:13], s[12:13], s[14:15]
	s_and_saveexec_b64 s[14:15], s[12:13]
.LBB5_17:                               ;   in Loop: Header=BB5_6 Depth=1
	ds_write_b64 v2, v[4:5] offset:16384
.LBB5_18:                               ;   in Loop: Header=BB5_6 Depth=1
	s_or_b64 exec, exec, s[14:15]
	s_waitcnt lgkmcnt(0)
	; wave barrier
	s_and_saveexec_b64 s[12:13], s[4:5]
	s_cbranch_execz .LBB5_5
; %bb.19:                               ;   in Loop: Header=BB5_6 Depth=1
	global_load_dwordx2 v[6:7], v2, s[0:1]
	ds_read_b64 v[8:9], v2 offset:16384
	s_mov_b64 s[14:15], 0
	v_mov_b32_e32 v3, v1
	v_mov_b32_e32 v4, v10
	s_waitcnt vmcnt(0) lgkmcnt(0)
	v_mul_f32_e32 v5, v6, v8
	v_mul_f32_e32 v15, v6, v9
	v_fma_f32 v6, v7, v9, -v5
	v_fma_f32 v8, v8, -v7, -v15
	v_mov_b32_e32 v9, v8
	v_mov_b32_e32 v7, v6
	;; [unrolled: 1-line block ×3, first 2 shown]
.LBB5_20:                               ;   Parent Loop BB5_6 Depth=1
                                        ; =>  This Inner Loop Header: Depth=2
	v_ashrrev_i32_e32 v5, 31, v4
	v_lshl_add_u64 v[16:17], v[4:5], 3, s[10:11]
	global_load_dwordx2 v[18:19], v[16:17], off
	ds_read_b64 v[20:21], v3
	v_add_u32_e32 v15, 64, v15
	v_cmp_le_i32_e32 vcc, s17, v15
	v_add_u32_e32 v3, 0x200, v3
	v_add_u32_e32 v4, s20, v4
	s_waitcnt lgkmcnt(0)
	v_pk_mul_f32 v[22:23], v[6:7], v[20:21]
	s_or_b64 s[14:15], vcc, s[14:15]
	v_pk_fma_f32 v[24:25], v[8:9], v[20:21], v[22:23] op_sel:[0,1,0] op_sel_hi:[1,0,1]
	v_pk_fma_f32 v[20:21], v[8:9], v[20:21], v[22:23] op_sel:[0,1,0] op_sel_hi:[1,0,1] neg_lo:[0,0,1] neg_hi:[0,0,1]
	s_nop 0
	v_mov_b32_e32 v25, v21
	s_waitcnt vmcnt(0)
	v_pk_add_f32 v[18:19], v[18:19], v[24:25]
	global_store_dwordx2 v[16:17], v[18:19], off
	s_andn2_b64 exec, exec, s[14:15]
	s_cbranch_execnz .LBB5_20
	s_branch .LBB5_5
.LBB5_21:
	s_endpgm
	.section	.rodata,"a",@progbits
	.p2align	6, 0x0
	.amdhsa_kernel _ZN9rocsolver6v33100L23larf_right_kernel_smallILi64E19rocblas_complex_numIfEiPS3_EEvT1_S5_T2_lS5_lPKT0_lS6_lS5_l
		.amdhsa_group_segment_fixed_size 16392
		.amdhsa_private_segment_fixed_size 0
		.amdhsa_kernarg_size 88
		.amdhsa_user_sgpr_count 2
		.amdhsa_user_sgpr_dispatch_ptr 0
		.amdhsa_user_sgpr_queue_ptr 0
		.amdhsa_user_sgpr_kernarg_segment_ptr 1
		.amdhsa_user_sgpr_dispatch_id 0
		.amdhsa_user_sgpr_kernarg_preload_length 0
		.amdhsa_user_sgpr_kernarg_preload_offset 0
		.amdhsa_user_sgpr_private_segment_size 0
		.amdhsa_uses_dynamic_stack 0
		.amdhsa_enable_private_segment 0
		.amdhsa_system_sgpr_workgroup_id_x 1
		.amdhsa_system_sgpr_workgroup_id_y 1
		.amdhsa_system_sgpr_workgroup_id_z 0
		.amdhsa_system_sgpr_workgroup_info 0
		.amdhsa_system_vgpr_workitem_id 0
		.amdhsa_next_free_vgpr 129
		.amdhsa_next_free_sgpr 96
		.amdhsa_accum_offset 28
		.amdhsa_reserve_vcc 1
		.amdhsa_float_round_mode_32 0
		.amdhsa_float_round_mode_16_64 0
		.amdhsa_float_denorm_mode_32 3
		.amdhsa_float_denorm_mode_16_64 3
		.amdhsa_dx10_clamp 1
		.amdhsa_ieee_mode 1
		.amdhsa_fp16_overflow 0
		.amdhsa_tg_split 0
		.amdhsa_exception_fp_ieee_invalid_op 0
		.amdhsa_exception_fp_denorm_src 0
		.amdhsa_exception_fp_ieee_div_zero 0
		.amdhsa_exception_fp_ieee_overflow 0
		.amdhsa_exception_fp_ieee_underflow 0
		.amdhsa_exception_fp_ieee_inexact 0
		.amdhsa_exception_int_div_zero 0
	.end_amdhsa_kernel
	.section	.text._ZN9rocsolver6v33100L23larf_right_kernel_smallILi64E19rocblas_complex_numIfEiPS3_EEvT1_S5_T2_lS5_lPKT0_lS6_lS5_l,"axG",@progbits,_ZN9rocsolver6v33100L23larf_right_kernel_smallILi64E19rocblas_complex_numIfEiPS3_EEvT1_S5_T2_lS5_lPKT0_lS6_lS5_l,comdat
.Lfunc_end5:
	.size	_ZN9rocsolver6v33100L23larf_right_kernel_smallILi64E19rocblas_complex_numIfEiPS3_EEvT1_S5_T2_lS5_lPKT0_lS6_lS5_l, .Lfunc_end5-_ZN9rocsolver6v33100L23larf_right_kernel_smallILi64E19rocblas_complex_numIfEiPS3_EEvT1_S5_T2_lS5_lPKT0_lS6_lS5_l
                                        ; -- End function
	.set _ZN9rocsolver6v33100L23larf_right_kernel_smallILi64E19rocblas_complex_numIfEiPS3_EEvT1_S5_T2_lS5_lPKT0_lS6_lS5_l.num_vgpr, 26
	.set _ZN9rocsolver6v33100L23larf_right_kernel_smallILi64E19rocblas_complex_numIfEiPS3_EEvT1_S5_T2_lS5_lPKT0_lS6_lS5_l.num_agpr, 0
	.set _ZN9rocsolver6v33100L23larf_right_kernel_smallILi64E19rocblas_complex_numIfEiPS3_EEvT1_S5_T2_lS5_lPKT0_lS6_lS5_l.numbered_sgpr, 28
	.set _ZN9rocsolver6v33100L23larf_right_kernel_smallILi64E19rocblas_complex_numIfEiPS3_EEvT1_S5_T2_lS5_lPKT0_lS6_lS5_l.num_named_barrier, 0
	.set _ZN9rocsolver6v33100L23larf_right_kernel_smallILi64E19rocblas_complex_numIfEiPS3_EEvT1_S5_T2_lS5_lPKT0_lS6_lS5_l.private_seg_size, 0
	.set _ZN9rocsolver6v33100L23larf_right_kernel_smallILi64E19rocblas_complex_numIfEiPS3_EEvT1_S5_T2_lS5_lPKT0_lS6_lS5_l.uses_vcc, 1
	.set _ZN9rocsolver6v33100L23larf_right_kernel_smallILi64E19rocblas_complex_numIfEiPS3_EEvT1_S5_T2_lS5_lPKT0_lS6_lS5_l.uses_flat_scratch, 0
	.set _ZN9rocsolver6v33100L23larf_right_kernel_smallILi64E19rocblas_complex_numIfEiPS3_EEvT1_S5_T2_lS5_lPKT0_lS6_lS5_l.has_dyn_sized_stack, 0
	.set _ZN9rocsolver6v33100L23larf_right_kernel_smallILi64E19rocblas_complex_numIfEiPS3_EEvT1_S5_T2_lS5_lPKT0_lS6_lS5_l.has_recursion, 0
	.set _ZN9rocsolver6v33100L23larf_right_kernel_smallILi64E19rocblas_complex_numIfEiPS3_EEvT1_S5_T2_lS5_lPKT0_lS6_lS5_l.has_indirect_call, 0
	.section	.AMDGPU.csdata,"",@progbits
; Kernel info:
; codeLenInByte = 1172
; TotalNumSgprs: 34
; NumVgprs: 26
; NumAgprs: 0
; TotalNumVgprs: 26
; ScratchSize: 0
; MemoryBound: 0
; FloatMode: 240
; IeeeMode: 1
; LDSByteSize: 16392 bytes/workgroup (compile time only)
; SGPRBlocks: 12
; VGPRBlocks: 16
; NumSGPRsForWavesPerEU: 102
; NumVGPRsForWavesPerEU: 129
; AccumOffset: 28
; Occupancy: 3
; WaveLimiterHint : 0
; COMPUTE_PGM_RSRC2:SCRATCH_EN: 0
; COMPUTE_PGM_RSRC2:USER_SGPR: 2
; COMPUTE_PGM_RSRC2:TRAP_HANDLER: 0
; COMPUTE_PGM_RSRC2:TGID_X_EN: 1
; COMPUTE_PGM_RSRC2:TGID_Y_EN: 1
; COMPUTE_PGM_RSRC2:TGID_Z_EN: 0
; COMPUTE_PGM_RSRC2:TIDIG_COMP_CNT: 0
; COMPUTE_PGM_RSRC3_GFX90A:ACCUM_OFFSET: 6
; COMPUTE_PGM_RSRC3_GFX90A:TG_SPLIT: 0
	.section	.text._ZN9rocsolver6v33100L23larf_right_kernel_smallILi128E19rocblas_complex_numIfEiPS3_EEvT1_S5_T2_lS5_lPKT0_lS6_lS5_l,"axG",@progbits,_ZN9rocsolver6v33100L23larf_right_kernel_smallILi128E19rocblas_complex_numIfEiPS3_EEvT1_S5_T2_lS5_lPKT0_lS6_lS5_l,comdat
	.globl	_ZN9rocsolver6v33100L23larf_right_kernel_smallILi128E19rocblas_complex_numIfEiPS3_EEvT1_S5_T2_lS5_lPKT0_lS6_lS5_l ; -- Begin function _ZN9rocsolver6v33100L23larf_right_kernel_smallILi128E19rocblas_complex_numIfEiPS3_EEvT1_S5_T2_lS5_lPKT0_lS6_lS5_l
	.p2align	8
	.type	_ZN9rocsolver6v33100L23larf_right_kernel_smallILi128E19rocblas_complex_numIfEiPS3_EEvT1_S5_T2_lS5_lPKT0_lS6_lS5_l,@function
_ZN9rocsolver6v33100L23larf_right_kernel_smallILi128E19rocblas_complex_numIfEiPS3_EEvT1_S5_T2_lS5_lPKT0_lS6_lS5_l: ; @_ZN9rocsolver6v33100L23larf_right_kernel_smallILi128E19rocblas_complex_numIfEiPS3_EEvT1_S5_T2_lS5_lPKT0_lS6_lS5_l
; %bb.0:
	s_load_dwordx2 s[18:19], s[0:1], 0x0
	s_load_dwordx8 s[8:15], s[0:1], 0x20
	s_load_dwordx2 s[4:5], s[0:1], 0x40
	s_mov_b32 s16, s3
	s_ashr_i32 s3, s2, 31
	s_waitcnt lgkmcnt(0)
	v_cmp_gt_i32_e64 s[6:7], s19, v0
	v_lshlrev_b32_e32 v1, 3, v0
	s_and_saveexec_b64 s[20:21], s[6:7]
	s_cbranch_execz .LBB6_3
; %bb.1:
	s_load_dwordx4 s[24:27], s[0:1], 0x8
	s_load_dword s17, s[0:1], 0x18
	s_mul_i32 s22, s8, s3
	s_mul_hi_u32 s23, s8, s2
	s_add_i32 s22, s23, s22
	s_mul_i32 s9, s9, s2
	s_add_i32 s9, s22, s9
	s_mul_i32 s8, s8, s2
	s_lshl_b64 s[8:9], s[8:9], 3
	s_waitcnt lgkmcnt(0)
	s_add_u32 s22, s24, s8
	s_addc_u32 s23, s25, s9
	s_lshl_b64 s[8:9], s[26:27], 3
	s_add_u32 s8, s22, s8
	s_addc_u32 s9, s23, s9
	s_sub_i32 s22, 1, s19
	s_mul_i32 s22, s17, s22
	s_cmp_lt_i32 s17, 1
	s_cselect_b32 s22, s22, 0
	v_mul_lo_u32 v2, v0, s17
	v_add_u32_e32 v2, s22, v2
	s_lshl_b32 s17, s17, 7
	v_lshlrev_b32_e32 v4, 3, v0
	s_mov_b64 s[22:23], 0
	v_mov_b32_e32 v5, v0
.LBB6_2:                                ; =>This Inner Loop Header: Depth=1
	v_ashrrev_i32_e32 v3, 31, v2
	v_lshl_add_u64 v[6:7], v[2:3], 3, s[8:9]
	global_load_dwordx2 v[6:7], v[6:7], off
	v_add_u32_e32 v5, 0x80, v5
	v_cmp_le_i32_e32 vcc, s19, v5
	v_add_u32_e32 v2, s17, v2
	s_or_b64 s[22:23], vcc, s[22:23]
	s_waitcnt vmcnt(0)
	ds_write_b64 v4, v[6:7]
	v_add_u32_e32 v4, 0x400, v4
	s_andn2_b64 exec, exec, s[22:23]
	s_cbranch_execnz .LBB6_2
.LBB6_3:
	s_or_b64 exec, exec, s[20:21]
	s_cmp_ge_i32 s16, s18
	s_waitcnt lgkmcnt(0)
	s_barrier
	s_cbranch_scc1 .LBB6_23
; %bb.4:
	s_load_dwordx2 s[8:9], s[0:1], 0x50
	s_load_dword s17, s[0:1], 0x48
	v_lshrrev_b32_e32 v3, 3, v0
	v_mbcnt_lo_u32_b32 v4, -1, 0
	v_and_b32_e32 v2, 63, v0
	s_waitcnt lgkmcnt(0)
	s_mul_i32 s1, s8, s3
	s_mul_hi_u32 s20, s8, s2
	s_mul_i32 s9, s9, s2
	s_add_i32 s1, s20, s1
	s_mul_i32 s0, s8, s2
	s_add_i32 s1, s1, s9
	s_lshl_b64 s[0:1], s[0:1], 3
	s_add_u32 s8, s14, s0
	s_addc_u32 s9, s15, s1
	s_lshl_b64 s[0:1], s[4:5], 3
	s_add_u32 s22, s8, s0
	s_addc_u32 s23, s9, s1
	s_mul_i32 s0, s12, s3
	s_mul_hi_u32 s1, s12, s2
	s_add_i32 s0, s1, s0
	s_mul_i32 s1, s13, s2
	s_add_i32 s1, s0, s1
	s_mul_i32 s0, s12, s2
	s_lshl_b64 s[0:1], s[0:1], 3
	s_add_u32 s0, s10, s0
	s_addc_u32 s1, s11, s1
	s_cmp_gt_i32 s19, 1
	v_mbcnt_hi_u32_b32 v11, -1, v4
	v_or_b32_e32 v13, 0x4000, v3
	v_mov_b32_e32 v3, 0x80
	s_cselect_b64 s[8:9], -1, 0
	v_cmp_eq_u32_e64 s[2:3], 0, v2
	v_cmp_eq_u32_e64 s[4:5], 0, v0
	v_mul_lo_u32 v10, v0, s17
	s_lshl_b32 s24, s17, 7
	v_mov_b32_e32 v2, 0
	v_and_b32_e32 v12, 63, v11
	v_lshl_or_b32 v14, v11, 2, v3
	s_branch .LBB6_6
.LBB6_5:                                ;   in Loop: Header=BB6_6 Depth=1
	s_or_b64 exec, exec, s[12:13]
	s_add_i32 s16, s16, 64
	s_cmp_ge_i32 s16, s18
	s_cbranch_scc1 .LBB6_23
.LBB6_6:                                ; =>This Loop Header: Depth=1
                                        ;     Child Loop BB6_8 Depth 2
                                        ;     Child Loop BB6_22 Depth 2
	s_ashr_i32 s17, s16, 31
	s_lshl_b64 s[10:11], s[16:17], 3
	s_add_u32 s10, s22, s10
	v_mov_b32_e32 v3, v2
	s_addc_u32 s11, s23, s11
	v_mov_b64_e32 v[4:5], v[2:3]
	s_and_saveexec_b64 s[12:13], s[6:7]
	s_cbranch_execz .LBB6_10
; %bb.7:                                ;   in Loop: Header=BB6_6 Depth=1
	v_mov_b32_e32 v4, 0
	s_mov_b64 s[14:15], 0
	v_mov_b32_e32 v6, v10
	v_mov_b32_e32 v3, v1
	;; [unrolled: 1-line block ×4, first 2 shown]
.LBB6_8:                                ;   Parent Loop BB6_6 Depth=1
                                        ; =>  This Inner Loop Header: Depth=2
	v_ashrrev_i32_e32 v7, 31, v6
	v_lshl_add_u64 v[16:17], v[6:7], 3, s[10:11]
	global_load_dwordx2 v[16:17], v[16:17], off
	ds_read_b64 v[18:19], v3
	v_add_u32_e32 v8, 0x80, v8
	v_cmp_le_i32_e32 vcc, s19, v8
	v_add_u32_e32 v3, 0x400, v3
	v_add_u32_e32 v6, s24, v6
	s_or_b64 s[14:15], vcc, s[14:15]
	s_waitcnt vmcnt(0) lgkmcnt(0)
	v_mul_f32_e32 v7, v17, v19
	v_mul_f32_e32 v21, v16, v19
	v_fma_f32 v20, v16, v18, -v7
	v_fmac_f32_e32 v21, v17, v18
	v_pk_add_f32 v[4:5], v[4:5], v[20:21]
	s_andn2_b64 exec, exec, s[14:15]
	s_cbranch_execnz .LBB6_8
; %bb.9:                                ;   in Loop: Header=BB6_6 Depth=1
	s_or_b64 exec, exec, s[14:15]
.LBB6_10:                               ;   in Loop: Header=BB6_6 Depth=1
	s_or_b64 exec, exec, s[12:13]
	s_and_b64 vcc, exec, s[8:9]
	s_cbranch_vccz .LBB6_17
; %bb.11:                               ;   in Loop: Header=BB6_6 Depth=1
	v_cmp_ne_u32_e32 vcc, 63, v12
	s_nop 1
	v_addc_co_u32_e32 v3, vcc, 0, v11, vcc
	v_lshlrev_b32_e32 v3, 2, v3
	ds_bpermute_b32 v6, v3, v4
	ds_bpermute_b32 v7, v3, v5
	v_cmp_gt_u32_e32 vcc, 62, v12
	s_waitcnt lgkmcnt(0)
	v_pk_add_f32 v[6:7], v[4:5], v[6:7]
	v_cndmask_b32_e64 v3, 0, 2, vcc
	v_add_lshl_u32 v3, v3, v11, 2
	ds_bpermute_b32 v8, v3, v6
	ds_bpermute_b32 v9, v3, v7
	v_cmp_gt_u32_e32 vcc, 60, v12
	s_waitcnt lgkmcnt(0)
	v_pk_add_f32 v[6:7], v[6:7], v[8:9]
	v_cndmask_b32_e64 v3, 0, 4, vcc
	v_add_lshl_u32 v3, v3, v11, 2
	;; [unrolled: 7-line block ×4, first 2 shown]
	ds_bpermute_b32 v8, v3, v6
	ds_bpermute_b32 v9, v3, v7
	s_waitcnt lgkmcnt(0)
	v_pk_add_f32 v[6:7], v[6:7], v[8:9]
	ds_bpermute_b32 v8, v14, v6
	ds_bpermute_b32 v9, v14, v7
	s_waitcnt lgkmcnt(0)
	v_pk_add_f32 v[8:9], v[6:7], v[8:9]
	s_and_saveexec_b64 s[12:13], s[2:3]
; %bb.12:                               ;   in Loop: Header=BB6_6 Depth=1
	ds_write2_b32 v13, v8, v9 offset1:1
; %bb.13:                               ;   in Loop: Header=BB6_6 Depth=1
	s_or_b64 exec, exec, s[12:13]
	s_mov_b64 s[14:15], 0
	s_mov_b64 s[12:13], 0
	s_waitcnt lgkmcnt(0)
	s_barrier
                                        ; implicit-def: $vgpr6_vgpr7
	s_and_saveexec_b64 s[20:21], s[4:5]
	s_xor_b64 s[20:21], exec, s[20:21]
	s_cbranch_execz .LBB6_15
; %bb.14:                               ;   in Loop: Header=BB6_6 Depth=1
	ds_read_b64 v[6:7], v2 offset:16392
	s_mov_b64 s[12:13], exec
	s_waitcnt lgkmcnt(0)
	v_pk_add_f32 v[6:7], v[8:9], v[6:7]
.LBB6_15:                               ;   in Loop: Header=BB6_6 Depth=1
	s_or_b64 exec, exec, s[20:21]
	s_and_b64 vcc, exec, s[14:15]
	s_cbranch_vccnz .LBB6_18
.LBB6_16:                               ;   in Loop: Header=BB6_6 Depth=1
	v_mov_b64_e32 v[4:5], v[6:7]
	s_and_saveexec_b64 s[14:15], s[12:13]
	s_cbranch_execnz .LBB6_19
	s_branch .LBB6_20
.LBB6_17:                               ;   in Loop: Header=BB6_6 Depth=1
	s_mov_b64 s[12:13], 0
                                        ; implicit-def: $vgpr6_vgpr7
	s_cbranch_execz .LBB6_16
.LBB6_18:                               ;   in Loop: Header=BB6_6 Depth=1
	s_andn2_b64 s[12:13], s[12:13], exec
	s_and_b64 s[14:15], s[4:5], exec
	s_or_b64 s[12:13], s[12:13], s[14:15]
	s_and_saveexec_b64 s[14:15], s[12:13]
.LBB6_19:                               ;   in Loop: Header=BB6_6 Depth=1
	ds_write_b64 v2, v[4:5] offset:16384
.LBB6_20:                               ;   in Loop: Header=BB6_6 Depth=1
	s_or_b64 exec, exec, s[14:15]
	s_waitcnt lgkmcnt(0)
	s_barrier
	s_and_saveexec_b64 s[12:13], s[6:7]
	s_cbranch_execz .LBB6_5
; %bb.21:                               ;   in Loop: Header=BB6_6 Depth=1
	global_load_dwordx2 v[6:7], v2, s[0:1]
	ds_read_b64 v[8:9], v2 offset:16384
	s_mov_b64 s[14:15], 0
	v_mov_b32_e32 v3, v1
	v_mov_b32_e32 v4, v10
	s_waitcnt vmcnt(0) lgkmcnt(0)
	v_mul_f32_e32 v5, v6, v8
	v_mul_f32_e32 v15, v6, v9
	v_fma_f32 v6, v7, v9, -v5
	v_fma_f32 v8, v8, -v7, -v15
	v_mov_b32_e32 v9, v8
	v_mov_b32_e32 v7, v6
	;; [unrolled: 1-line block ×3, first 2 shown]
.LBB6_22:                               ;   Parent Loop BB6_6 Depth=1
                                        ; =>  This Inner Loop Header: Depth=2
	v_ashrrev_i32_e32 v5, 31, v4
	v_lshl_add_u64 v[16:17], v[4:5], 3, s[10:11]
	global_load_dwordx2 v[18:19], v[16:17], off
	ds_read_b64 v[20:21], v3
	v_add_u32_e32 v15, 0x80, v15
	v_cmp_le_i32_e32 vcc, s19, v15
	v_add_u32_e32 v3, 0x400, v3
	v_add_u32_e32 v4, s24, v4
	s_waitcnt lgkmcnt(0)
	v_pk_mul_f32 v[22:23], v[6:7], v[20:21]
	s_or_b64 s[14:15], vcc, s[14:15]
	v_pk_fma_f32 v[24:25], v[8:9], v[20:21], v[22:23] op_sel:[0,1,0] op_sel_hi:[1,0,1]
	v_pk_fma_f32 v[20:21], v[8:9], v[20:21], v[22:23] op_sel:[0,1,0] op_sel_hi:[1,0,1] neg_lo:[0,0,1] neg_hi:[0,0,1]
	s_nop 0
	v_mov_b32_e32 v25, v21
	s_waitcnt vmcnt(0)
	v_pk_add_f32 v[18:19], v[18:19], v[24:25]
	global_store_dwordx2 v[16:17], v[18:19], off
	s_andn2_b64 exec, exec, s[14:15]
	s_cbranch_execnz .LBB6_22
	s_branch .LBB6_5
.LBB6_23:
	s_endpgm
	.section	.rodata,"a",@progbits
	.p2align	6, 0x0
	.amdhsa_kernel _ZN9rocsolver6v33100L23larf_right_kernel_smallILi128E19rocblas_complex_numIfEiPS3_EEvT1_S5_T2_lS5_lPKT0_lS6_lS5_l
		.amdhsa_group_segment_fixed_size 16400
		.amdhsa_private_segment_fixed_size 0
		.amdhsa_kernarg_size 88
		.amdhsa_user_sgpr_count 2
		.amdhsa_user_sgpr_dispatch_ptr 0
		.amdhsa_user_sgpr_queue_ptr 0
		.amdhsa_user_sgpr_kernarg_segment_ptr 1
		.amdhsa_user_sgpr_dispatch_id 0
		.amdhsa_user_sgpr_kernarg_preload_length 0
		.amdhsa_user_sgpr_kernarg_preload_offset 0
		.amdhsa_user_sgpr_private_segment_size 0
		.amdhsa_uses_dynamic_stack 0
		.amdhsa_enable_private_segment 0
		.amdhsa_system_sgpr_workgroup_id_x 1
		.amdhsa_system_sgpr_workgroup_id_y 1
		.amdhsa_system_sgpr_workgroup_id_z 0
		.amdhsa_system_sgpr_workgroup_info 0
		.amdhsa_system_vgpr_workitem_id 0
		.amdhsa_next_free_vgpr 81
		.amdhsa_next_free_sgpr 96
		.amdhsa_accum_offset 28
		.amdhsa_reserve_vcc 1
		.amdhsa_float_round_mode_32 0
		.amdhsa_float_round_mode_16_64 0
		.amdhsa_float_denorm_mode_32 3
		.amdhsa_float_denorm_mode_16_64 3
		.amdhsa_dx10_clamp 1
		.amdhsa_ieee_mode 1
		.amdhsa_fp16_overflow 0
		.amdhsa_tg_split 0
		.amdhsa_exception_fp_ieee_invalid_op 0
		.amdhsa_exception_fp_denorm_src 0
		.amdhsa_exception_fp_ieee_div_zero 0
		.amdhsa_exception_fp_ieee_overflow 0
		.amdhsa_exception_fp_ieee_underflow 0
		.amdhsa_exception_fp_ieee_inexact 0
		.amdhsa_exception_int_div_zero 0
	.end_amdhsa_kernel
	.section	.text._ZN9rocsolver6v33100L23larf_right_kernel_smallILi128E19rocblas_complex_numIfEiPS3_EEvT1_S5_T2_lS5_lPKT0_lS6_lS5_l,"axG",@progbits,_ZN9rocsolver6v33100L23larf_right_kernel_smallILi128E19rocblas_complex_numIfEiPS3_EEvT1_S5_T2_lS5_lPKT0_lS6_lS5_l,comdat
.Lfunc_end6:
	.size	_ZN9rocsolver6v33100L23larf_right_kernel_smallILi128E19rocblas_complex_numIfEiPS3_EEvT1_S5_T2_lS5_lPKT0_lS6_lS5_l, .Lfunc_end6-_ZN9rocsolver6v33100L23larf_right_kernel_smallILi128E19rocblas_complex_numIfEiPS3_EEvT1_S5_T2_lS5_lPKT0_lS6_lS5_l
                                        ; -- End function
	.set _ZN9rocsolver6v33100L23larf_right_kernel_smallILi128E19rocblas_complex_numIfEiPS3_EEvT1_S5_T2_lS5_lPKT0_lS6_lS5_l.num_vgpr, 26
	.set _ZN9rocsolver6v33100L23larf_right_kernel_smallILi128E19rocblas_complex_numIfEiPS3_EEvT1_S5_T2_lS5_lPKT0_lS6_lS5_l.num_agpr, 0
	.set _ZN9rocsolver6v33100L23larf_right_kernel_smallILi128E19rocblas_complex_numIfEiPS3_EEvT1_S5_T2_lS5_lPKT0_lS6_lS5_l.numbered_sgpr, 28
	.set _ZN9rocsolver6v33100L23larf_right_kernel_smallILi128E19rocblas_complex_numIfEiPS3_EEvT1_S5_T2_lS5_lPKT0_lS6_lS5_l.num_named_barrier, 0
	.set _ZN9rocsolver6v33100L23larf_right_kernel_smallILi128E19rocblas_complex_numIfEiPS3_EEvT1_S5_T2_lS5_lPKT0_lS6_lS5_l.private_seg_size, 0
	.set _ZN9rocsolver6v33100L23larf_right_kernel_smallILi128E19rocblas_complex_numIfEiPS3_EEvT1_S5_T2_lS5_lPKT0_lS6_lS5_l.uses_vcc, 1
	.set _ZN9rocsolver6v33100L23larf_right_kernel_smallILi128E19rocblas_complex_numIfEiPS3_EEvT1_S5_T2_lS5_lPKT0_lS6_lS5_l.uses_flat_scratch, 0
	.set _ZN9rocsolver6v33100L23larf_right_kernel_smallILi128E19rocblas_complex_numIfEiPS3_EEvT1_S5_T2_lS5_lPKT0_lS6_lS5_l.has_dyn_sized_stack, 0
	.set _ZN9rocsolver6v33100L23larf_right_kernel_smallILi128E19rocblas_complex_numIfEiPS3_EEvT1_S5_T2_lS5_lPKT0_lS6_lS5_l.has_recursion, 0
	.set _ZN9rocsolver6v33100L23larf_right_kernel_smallILi128E19rocblas_complex_numIfEiPS3_EEvT1_S5_T2_lS5_lPKT0_lS6_lS5_l.has_indirect_call, 0
	.section	.AMDGPU.csdata,"",@progbits
; Kernel info:
; codeLenInByte = 1248
; TotalNumSgprs: 34
; NumVgprs: 26
; NumAgprs: 0
; TotalNumVgprs: 26
; ScratchSize: 0
; MemoryBound: 0
; FloatMode: 240
; IeeeMode: 1
; LDSByteSize: 16400 bytes/workgroup (compile time only)
; SGPRBlocks: 12
; VGPRBlocks: 10
; NumSGPRsForWavesPerEU: 102
; NumVGPRsForWavesPerEU: 81
; AccumOffset: 28
; Occupancy: 5
; WaveLimiterHint : 0
; COMPUTE_PGM_RSRC2:SCRATCH_EN: 0
; COMPUTE_PGM_RSRC2:USER_SGPR: 2
; COMPUTE_PGM_RSRC2:TRAP_HANDLER: 0
; COMPUTE_PGM_RSRC2:TGID_X_EN: 1
; COMPUTE_PGM_RSRC2:TGID_Y_EN: 1
; COMPUTE_PGM_RSRC2:TGID_Z_EN: 0
; COMPUTE_PGM_RSRC2:TIDIG_COMP_CNT: 0
; COMPUTE_PGM_RSRC3_GFX90A:ACCUM_OFFSET: 6
; COMPUTE_PGM_RSRC3_GFX90A:TG_SPLIT: 0
	.section	.text._ZN9rocsolver6v33100L23larf_right_kernel_smallILi256E19rocblas_complex_numIfEiPS3_EEvT1_S5_T2_lS5_lPKT0_lS6_lS5_l,"axG",@progbits,_ZN9rocsolver6v33100L23larf_right_kernel_smallILi256E19rocblas_complex_numIfEiPS3_EEvT1_S5_T2_lS5_lPKT0_lS6_lS5_l,comdat
	.globl	_ZN9rocsolver6v33100L23larf_right_kernel_smallILi256E19rocblas_complex_numIfEiPS3_EEvT1_S5_T2_lS5_lPKT0_lS6_lS5_l ; -- Begin function _ZN9rocsolver6v33100L23larf_right_kernel_smallILi256E19rocblas_complex_numIfEiPS3_EEvT1_S5_T2_lS5_lPKT0_lS6_lS5_l
	.p2align	8
	.type	_ZN9rocsolver6v33100L23larf_right_kernel_smallILi256E19rocblas_complex_numIfEiPS3_EEvT1_S5_T2_lS5_lPKT0_lS6_lS5_l,@function
_ZN9rocsolver6v33100L23larf_right_kernel_smallILi256E19rocblas_complex_numIfEiPS3_EEvT1_S5_T2_lS5_lPKT0_lS6_lS5_l: ; @_ZN9rocsolver6v33100L23larf_right_kernel_smallILi256E19rocblas_complex_numIfEiPS3_EEvT1_S5_T2_lS5_lPKT0_lS6_lS5_l
; %bb.0:
	s_load_dwordx2 s[18:19], s[0:1], 0x0
	s_load_dwordx8 s[8:15], s[0:1], 0x20
	s_load_dwordx2 s[4:5], s[0:1], 0x40
	s_mov_b32 s16, s3
	s_ashr_i32 s3, s2, 31
	s_waitcnt lgkmcnt(0)
	v_cmp_gt_i32_e64 s[6:7], s19, v0
	v_lshlrev_b32_e32 v1, 3, v0
	s_and_saveexec_b64 s[20:21], s[6:7]
	s_cbranch_execz .LBB7_3
; %bb.1:
	s_load_dwordx4 s[24:27], s[0:1], 0x8
	s_load_dword s17, s[0:1], 0x18
	s_mul_i32 s22, s8, s3
	s_mul_hi_u32 s23, s8, s2
	s_add_i32 s22, s23, s22
	s_mul_i32 s9, s9, s2
	s_add_i32 s9, s22, s9
	s_mul_i32 s8, s8, s2
	s_lshl_b64 s[8:9], s[8:9], 3
	s_waitcnt lgkmcnt(0)
	s_add_u32 s22, s24, s8
	s_addc_u32 s23, s25, s9
	s_lshl_b64 s[8:9], s[26:27], 3
	s_add_u32 s8, s22, s8
	s_addc_u32 s9, s23, s9
	s_sub_i32 s22, 1, s19
	s_mul_i32 s22, s17, s22
	s_cmp_lt_i32 s17, 1
	s_cselect_b32 s22, s22, 0
	v_mul_lo_u32 v2, v0, s17
	v_add_u32_e32 v2, s22, v2
	s_lshl_b32 s17, s17, 8
	v_lshlrev_b32_e32 v4, 3, v0
	s_mov_b64 s[22:23], 0
	v_mov_b32_e32 v5, v0
.LBB7_2:                                ; =>This Inner Loop Header: Depth=1
	v_ashrrev_i32_e32 v3, 31, v2
	v_lshl_add_u64 v[6:7], v[2:3], 3, s[8:9]
	global_load_dwordx2 v[6:7], v[6:7], off
	v_add_u32_e32 v5, 0x100, v5
	v_cmp_le_i32_e32 vcc, s19, v5
	v_add_u32_e32 v2, s17, v2
	s_or_b64 s[22:23], vcc, s[22:23]
	s_waitcnt vmcnt(0)
	ds_write_b64 v4, v[6:7]
	v_add_u32_e32 v4, 0x800, v4
	s_andn2_b64 exec, exec, s[22:23]
	s_cbranch_execnz .LBB7_2
.LBB7_3:
	s_or_b64 exec, exec, s[20:21]
	s_cmp_ge_i32 s16, s18
	s_waitcnt lgkmcnt(0)
	s_barrier
	s_cbranch_scc1 .LBB7_23
; %bb.4:
	s_load_dwordx2 s[8:9], s[0:1], 0x50
	s_load_dword s17, s[0:1], 0x48
	v_lshrrev_b32_e32 v3, 3, v0
	v_mbcnt_lo_u32_b32 v4, -1, 0
	v_and_b32_e32 v2, 63, v0
	s_waitcnt lgkmcnt(0)
	s_mul_i32 s1, s8, s3
	s_mul_hi_u32 s20, s8, s2
	s_mul_i32 s9, s9, s2
	s_add_i32 s1, s20, s1
	s_mul_i32 s0, s8, s2
	s_add_i32 s1, s1, s9
	s_lshl_b64 s[0:1], s[0:1], 3
	s_add_u32 s8, s14, s0
	s_addc_u32 s9, s15, s1
	s_lshl_b64 s[0:1], s[4:5], 3
	s_add_u32 s22, s8, s0
	s_addc_u32 s23, s9, s1
	s_mul_i32 s0, s12, s3
	s_mul_hi_u32 s1, s12, s2
	s_add_i32 s0, s1, s0
	s_mul_i32 s1, s13, s2
	s_add_i32 s1, s0, s1
	s_mul_i32 s0, s12, s2
	s_lshl_b64 s[0:1], s[0:1], 3
	s_add_u32 s0, s10, s0
	s_addc_u32 s1, s11, s1
	s_cmp_gt_i32 s19, 1
	v_mbcnt_hi_u32_b32 v11, -1, v4
	v_or_b32_e32 v13, 0x4000, v3
	v_mov_b32_e32 v3, 0x80
	s_cselect_b64 s[8:9], -1, 0
	v_cmp_eq_u32_e64 s[2:3], 0, v2
	v_cmp_eq_u32_e64 s[4:5], 0, v0
	v_mul_lo_u32 v10, v0, s17
	s_lshl_b32 s24, s17, 8
	v_mov_b32_e32 v2, 0
	v_and_b32_e32 v12, 63, v11
	v_mov_b32_e32 v14, 0x4008
	v_lshl_or_b32 v15, v11, 2, v3
	s_branch .LBB7_6
.LBB7_5:                                ;   in Loop: Header=BB7_6 Depth=1
	s_or_b64 exec, exec, s[12:13]
	s_add_i32 s16, s16, 64
	s_cmp_ge_i32 s16, s18
	s_cbranch_scc1 .LBB7_23
.LBB7_6:                                ; =>This Loop Header: Depth=1
                                        ;     Child Loop BB7_8 Depth 2
                                        ;     Child Loop BB7_22 Depth 2
	s_ashr_i32 s17, s16, 31
	s_lshl_b64 s[10:11], s[16:17], 3
	s_add_u32 s10, s22, s10
	v_mov_b32_e32 v3, v2
	s_addc_u32 s11, s23, s11
	v_mov_b64_e32 v[4:5], v[2:3]
	s_and_saveexec_b64 s[12:13], s[6:7]
	s_cbranch_execz .LBB7_10
; %bb.7:                                ;   in Loop: Header=BB7_6 Depth=1
	v_mov_b32_e32 v5, 0
	s_mov_b64 s[14:15], 0
	v_mov_b32_e32 v6, v10
	v_mov_b32_e32 v3, v1
	;; [unrolled: 1-line block ×4, first 2 shown]
.LBB7_8:                                ;   Parent Loop BB7_6 Depth=1
                                        ; =>  This Inner Loop Header: Depth=2
	v_ashrrev_i32_e32 v7, 31, v6
	v_lshl_add_u64 v[16:17], v[6:7], 3, s[10:11]
	global_load_dwordx2 v[16:17], v[16:17], off
	ds_read_b64 v[18:19], v3
	v_add_u32_e32 v8, 0x100, v8
	v_cmp_le_i32_e32 vcc, s19, v8
	v_add_u32_e32 v3, 0x800, v3
	v_add_u32_e32 v6, s24, v6
	s_or_b64 s[14:15], vcc, s[14:15]
	s_waitcnt vmcnt(0) lgkmcnt(0)
	v_mul_f32_e32 v7, v17, v19
	v_mul_f32_e32 v9, v16, v19
	v_fma_f32 v7, v16, v18, -v7
	v_fmac_f32_e32 v9, v17, v18
	v_add_f32_e32 v4, v4, v7
	v_add_f32_e32 v5, v5, v9
	s_andn2_b64 exec, exec, s[14:15]
	s_cbranch_execnz .LBB7_8
; %bb.9:                                ;   in Loop: Header=BB7_6 Depth=1
	s_or_b64 exec, exec, s[14:15]
.LBB7_10:                               ;   in Loop: Header=BB7_6 Depth=1
	s_or_b64 exec, exec, s[12:13]
	s_and_b64 vcc, exec, s[8:9]
	s_cbranch_vccz .LBB7_17
; %bb.11:                               ;   in Loop: Header=BB7_6 Depth=1
	v_cmp_ne_u32_e32 vcc, 63, v12
	s_nop 1
	v_addc_co_u32_e32 v3, vcc, 0, v11, vcc
	v_lshlrev_b32_e32 v3, 2, v3
	ds_bpermute_b32 v6, v3, v4
	ds_bpermute_b32 v7, v3, v5
	v_cmp_gt_u32_e32 vcc, 62, v12
	s_waitcnt lgkmcnt(0)
	v_pk_add_f32 v[6:7], v[4:5], v[6:7]
	v_cndmask_b32_e64 v3, 0, 2, vcc
	v_add_lshl_u32 v3, v3, v11, 2
	ds_bpermute_b32 v8, v3, v6
	ds_bpermute_b32 v9, v3, v7
	v_cmp_gt_u32_e32 vcc, 60, v12
	s_waitcnt lgkmcnt(0)
	v_pk_add_f32 v[6:7], v[6:7], v[8:9]
	v_cndmask_b32_e64 v3, 0, 4, vcc
	v_add_lshl_u32 v3, v3, v11, 2
	;; [unrolled: 7-line block ×4, first 2 shown]
	ds_bpermute_b32 v8, v3, v6
	ds_bpermute_b32 v9, v3, v7
	s_waitcnt lgkmcnt(0)
	v_pk_add_f32 v[6:7], v[6:7], v[8:9]
	ds_bpermute_b32 v8, v15, v6
	ds_bpermute_b32 v9, v15, v7
	s_waitcnt lgkmcnt(0)
	v_pk_add_f32 v[8:9], v[6:7], v[8:9]
	s_and_saveexec_b64 s[12:13], s[2:3]
; %bb.12:                               ;   in Loop: Header=BB7_6 Depth=1
	ds_write2_b32 v13, v8, v9 offset1:1
; %bb.13:                               ;   in Loop: Header=BB7_6 Depth=1
	s_or_b64 exec, exec, s[12:13]
	s_mov_b64 s[14:15], 0
	s_mov_b64 s[12:13], 0
	s_waitcnt lgkmcnt(0)
	s_barrier
                                        ; implicit-def: $vgpr6_vgpr7
	s_and_saveexec_b64 s[20:21], s[4:5]
	s_xor_b64 s[20:21], exec, s[20:21]
	s_cbranch_execz .LBB7_15
; %bb.14:                               ;   in Loop: Header=BB7_6 Depth=1
	ds_read2_b64 v[16:19], v14 offset1:1
	ds_read_b64 v[6:7], v2 offset:16408
	s_mov_b64 s[12:13], exec
	s_waitcnt lgkmcnt(1)
	v_pk_add_f32 v[8:9], v[8:9], v[16:17]
	s_nop 0
	v_pk_add_f32 v[8:9], v[8:9], v[18:19]
	s_waitcnt lgkmcnt(0)
	v_pk_add_f32 v[6:7], v[8:9], v[6:7]
.LBB7_15:                               ;   in Loop: Header=BB7_6 Depth=1
	s_or_b64 exec, exec, s[20:21]
	s_and_b64 vcc, exec, s[14:15]
	s_cbranch_vccnz .LBB7_18
.LBB7_16:                               ;   in Loop: Header=BB7_6 Depth=1
	v_mov_b64_e32 v[4:5], v[6:7]
	s_and_saveexec_b64 s[14:15], s[12:13]
	s_cbranch_execnz .LBB7_19
	s_branch .LBB7_20
.LBB7_17:                               ;   in Loop: Header=BB7_6 Depth=1
	s_mov_b64 s[12:13], 0
                                        ; implicit-def: $vgpr6_vgpr7
	s_cbranch_execz .LBB7_16
.LBB7_18:                               ;   in Loop: Header=BB7_6 Depth=1
	s_andn2_b64 s[12:13], s[12:13], exec
	s_and_b64 s[14:15], s[4:5], exec
	s_or_b64 s[12:13], s[12:13], s[14:15]
	s_and_saveexec_b64 s[14:15], s[12:13]
.LBB7_19:                               ;   in Loop: Header=BB7_6 Depth=1
	ds_write_b64 v2, v[4:5] offset:16384
.LBB7_20:                               ;   in Loop: Header=BB7_6 Depth=1
	s_or_b64 exec, exec, s[14:15]
	s_waitcnt lgkmcnt(0)
	s_barrier
	s_and_saveexec_b64 s[12:13], s[6:7]
	s_cbranch_execz .LBB7_5
; %bb.21:                               ;   in Loop: Header=BB7_6 Depth=1
	global_load_dwordx2 v[6:7], v2, s[0:1]
	ds_read_b64 v[8:9], v2 offset:16384
	s_mov_b64 s[14:15], 0
	v_mov_b32_e32 v3, v1
	v_mov_b32_e32 v4, v10
	s_waitcnt vmcnt(0) lgkmcnt(0)
	v_mul_f32_e32 v5, v6, v8
	v_mul_f32_e32 v16, v6, v9
	v_fma_f32 v6, v7, v9, -v5
	v_fma_f32 v8, v8, -v7, -v16
	v_mov_b32_e32 v9, v8
	v_mov_b32_e32 v7, v6
	;; [unrolled: 1-line block ×3, first 2 shown]
.LBB7_22:                               ;   Parent Loop BB7_6 Depth=1
                                        ; =>  This Inner Loop Header: Depth=2
	v_ashrrev_i32_e32 v5, 31, v4
	v_lshl_add_u64 v[18:19], v[4:5], 3, s[10:11]
	global_load_dwordx2 v[20:21], v[18:19], off
	ds_read_b64 v[22:23], v3
	v_add_u32_e32 v16, 0x100, v16
	v_cmp_le_i32_e32 vcc, s19, v16
	v_add_u32_e32 v3, 0x800, v3
	v_add_u32_e32 v4, s24, v4
	s_waitcnt lgkmcnt(0)
	v_pk_mul_f32 v[24:25], v[6:7], v[22:23]
	s_or_b64 s[14:15], vcc, s[14:15]
	v_pk_fma_f32 v[26:27], v[8:9], v[22:23], v[24:25] op_sel:[0,1,0] op_sel_hi:[1,0,1]
	v_pk_fma_f32 v[22:23], v[8:9], v[22:23], v[24:25] op_sel:[0,1,0] op_sel_hi:[1,0,1] neg_lo:[0,0,1] neg_hi:[0,0,1]
	s_nop 0
	v_mov_b32_e32 v27, v23
	s_waitcnt vmcnt(0)
	v_pk_add_f32 v[20:21], v[20:21], v[26:27]
	global_store_dwordx2 v[18:19], v[20:21], off
	s_andn2_b64 exec, exec, s[14:15]
	s_cbranch_execnz .LBB7_22
	s_branch .LBB7_5
.LBB7_23:
	s_endpgm
	.section	.rodata,"a",@progbits
	.p2align	6, 0x0
	.amdhsa_kernel _ZN9rocsolver6v33100L23larf_right_kernel_smallILi256E19rocblas_complex_numIfEiPS3_EEvT1_S5_T2_lS5_lPKT0_lS6_lS5_l
		.amdhsa_group_segment_fixed_size 16416
		.amdhsa_private_segment_fixed_size 0
		.amdhsa_kernarg_size 88
		.amdhsa_user_sgpr_count 2
		.amdhsa_user_sgpr_dispatch_ptr 0
		.amdhsa_user_sgpr_queue_ptr 0
		.amdhsa_user_sgpr_kernarg_segment_ptr 1
		.amdhsa_user_sgpr_dispatch_id 0
		.amdhsa_user_sgpr_kernarg_preload_length 0
		.amdhsa_user_sgpr_kernarg_preload_offset 0
		.amdhsa_user_sgpr_private_segment_size 0
		.amdhsa_uses_dynamic_stack 0
		.amdhsa_enable_private_segment 0
		.amdhsa_system_sgpr_workgroup_id_x 1
		.amdhsa_system_sgpr_workgroup_id_y 1
		.amdhsa_system_sgpr_workgroup_id_z 0
		.amdhsa_system_sgpr_workgroup_info 0
		.amdhsa_system_vgpr_workitem_id 0
		.amdhsa_next_free_vgpr 28
		.amdhsa_next_free_sgpr 28
		.amdhsa_accum_offset 28
		.amdhsa_reserve_vcc 1
		.amdhsa_float_round_mode_32 0
		.amdhsa_float_round_mode_16_64 0
		.amdhsa_float_denorm_mode_32 3
		.amdhsa_float_denorm_mode_16_64 3
		.amdhsa_dx10_clamp 1
		.amdhsa_ieee_mode 1
		.amdhsa_fp16_overflow 0
		.amdhsa_tg_split 0
		.amdhsa_exception_fp_ieee_invalid_op 0
		.amdhsa_exception_fp_denorm_src 0
		.amdhsa_exception_fp_ieee_div_zero 0
		.amdhsa_exception_fp_ieee_overflow 0
		.amdhsa_exception_fp_ieee_underflow 0
		.amdhsa_exception_fp_ieee_inexact 0
		.amdhsa_exception_int_div_zero 0
	.end_amdhsa_kernel
	.section	.text._ZN9rocsolver6v33100L23larf_right_kernel_smallILi256E19rocblas_complex_numIfEiPS3_EEvT1_S5_T2_lS5_lPKT0_lS6_lS5_l,"axG",@progbits,_ZN9rocsolver6v33100L23larf_right_kernel_smallILi256E19rocblas_complex_numIfEiPS3_EEvT1_S5_T2_lS5_lPKT0_lS6_lS5_l,comdat
.Lfunc_end7:
	.size	_ZN9rocsolver6v33100L23larf_right_kernel_smallILi256E19rocblas_complex_numIfEiPS3_EEvT1_S5_T2_lS5_lPKT0_lS6_lS5_l, .Lfunc_end7-_ZN9rocsolver6v33100L23larf_right_kernel_smallILi256E19rocblas_complex_numIfEiPS3_EEvT1_S5_T2_lS5_lPKT0_lS6_lS5_l
                                        ; -- End function
	.set _ZN9rocsolver6v33100L23larf_right_kernel_smallILi256E19rocblas_complex_numIfEiPS3_EEvT1_S5_T2_lS5_lPKT0_lS6_lS5_l.num_vgpr, 28
	.set _ZN9rocsolver6v33100L23larf_right_kernel_smallILi256E19rocblas_complex_numIfEiPS3_EEvT1_S5_T2_lS5_lPKT0_lS6_lS5_l.num_agpr, 0
	.set _ZN9rocsolver6v33100L23larf_right_kernel_smallILi256E19rocblas_complex_numIfEiPS3_EEvT1_S5_T2_lS5_lPKT0_lS6_lS5_l.numbered_sgpr, 28
	.set _ZN9rocsolver6v33100L23larf_right_kernel_smallILi256E19rocblas_complex_numIfEiPS3_EEvT1_S5_T2_lS5_lPKT0_lS6_lS5_l.num_named_barrier, 0
	.set _ZN9rocsolver6v33100L23larf_right_kernel_smallILi256E19rocblas_complex_numIfEiPS3_EEvT1_S5_T2_lS5_lPKT0_lS6_lS5_l.private_seg_size, 0
	.set _ZN9rocsolver6v33100L23larf_right_kernel_smallILi256E19rocblas_complex_numIfEiPS3_EEvT1_S5_T2_lS5_lPKT0_lS6_lS5_l.uses_vcc, 1
	.set _ZN9rocsolver6v33100L23larf_right_kernel_smallILi256E19rocblas_complex_numIfEiPS3_EEvT1_S5_T2_lS5_lPKT0_lS6_lS5_l.uses_flat_scratch, 0
	.set _ZN9rocsolver6v33100L23larf_right_kernel_smallILi256E19rocblas_complex_numIfEiPS3_EEvT1_S5_T2_lS5_lPKT0_lS6_lS5_l.has_dyn_sized_stack, 0
	.set _ZN9rocsolver6v33100L23larf_right_kernel_smallILi256E19rocblas_complex_numIfEiPS3_EEvT1_S5_T2_lS5_lPKT0_lS6_lS5_l.has_recursion, 0
	.set _ZN9rocsolver6v33100L23larf_right_kernel_smallILi256E19rocblas_complex_numIfEiPS3_EEvT1_S5_T2_lS5_lPKT0_lS6_lS5_l.has_indirect_call, 0
	.section	.AMDGPU.csdata,"",@progbits
; Kernel info:
; codeLenInByte = 1288
; TotalNumSgprs: 34
; NumVgprs: 28
; NumAgprs: 0
; TotalNumVgprs: 28
; ScratchSize: 0
; MemoryBound: 0
; FloatMode: 240
; IeeeMode: 1
; LDSByteSize: 16416 bytes/workgroup (compile time only)
; SGPRBlocks: 4
; VGPRBlocks: 3
; NumSGPRsForWavesPerEU: 34
; NumVGPRsForWavesPerEU: 28
; AccumOffset: 28
; Occupancy: 8
; WaveLimiterHint : 0
; COMPUTE_PGM_RSRC2:SCRATCH_EN: 0
; COMPUTE_PGM_RSRC2:USER_SGPR: 2
; COMPUTE_PGM_RSRC2:TRAP_HANDLER: 0
; COMPUTE_PGM_RSRC2:TGID_X_EN: 1
; COMPUTE_PGM_RSRC2:TGID_Y_EN: 1
; COMPUTE_PGM_RSRC2:TGID_Z_EN: 0
; COMPUTE_PGM_RSRC2:TIDIG_COMP_CNT: 0
; COMPUTE_PGM_RSRC3_GFX90A:ACCUM_OFFSET: 6
; COMPUTE_PGM_RSRC3_GFX90A:TG_SPLIT: 0
	.section	.text._ZN9rocsolver6v33100L23larf_right_kernel_smallILi512E19rocblas_complex_numIfEiPS3_EEvT1_S5_T2_lS5_lPKT0_lS6_lS5_l,"axG",@progbits,_ZN9rocsolver6v33100L23larf_right_kernel_smallILi512E19rocblas_complex_numIfEiPS3_EEvT1_S5_T2_lS5_lPKT0_lS6_lS5_l,comdat
	.globl	_ZN9rocsolver6v33100L23larf_right_kernel_smallILi512E19rocblas_complex_numIfEiPS3_EEvT1_S5_T2_lS5_lPKT0_lS6_lS5_l ; -- Begin function _ZN9rocsolver6v33100L23larf_right_kernel_smallILi512E19rocblas_complex_numIfEiPS3_EEvT1_S5_T2_lS5_lPKT0_lS6_lS5_l
	.p2align	8
	.type	_ZN9rocsolver6v33100L23larf_right_kernel_smallILi512E19rocblas_complex_numIfEiPS3_EEvT1_S5_T2_lS5_lPKT0_lS6_lS5_l,@function
_ZN9rocsolver6v33100L23larf_right_kernel_smallILi512E19rocblas_complex_numIfEiPS3_EEvT1_S5_T2_lS5_lPKT0_lS6_lS5_l: ; @_ZN9rocsolver6v33100L23larf_right_kernel_smallILi512E19rocblas_complex_numIfEiPS3_EEvT1_S5_T2_lS5_lPKT0_lS6_lS5_l
; %bb.0:
	s_load_dwordx2 s[18:19], s[0:1], 0x0
	s_load_dwordx8 s[8:15], s[0:1], 0x20
	s_load_dwordx2 s[4:5], s[0:1], 0x40
	s_mov_b32 s16, s3
	s_ashr_i32 s3, s2, 31
	s_waitcnt lgkmcnt(0)
	v_cmp_gt_i32_e64 s[6:7], s19, v0
	v_lshlrev_b32_e32 v1, 3, v0
	s_and_saveexec_b64 s[20:21], s[6:7]
	s_cbranch_execz .LBB8_3
; %bb.1:
	s_load_dwordx4 s[24:27], s[0:1], 0x8
	s_load_dword s17, s[0:1], 0x18
	s_mul_i32 s22, s8, s3
	s_mul_hi_u32 s23, s8, s2
	s_add_i32 s22, s23, s22
	s_mul_i32 s9, s9, s2
	s_add_i32 s9, s22, s9
	s_mul_i32 s8, s8, s2
	s_lshl_b64 s[8:9], s[8:9], 3
	s_waitcnt lgkmcnt(0)
	s_add_u32 s22, s24, s8
	s_addc_u32 s23, s25, s9
	s_lshl_b64 s[8:9], s[26:27], 3
	s_add_u32 s8, s22, s8
	s_addc_u32 s9, s23, s9
	s_sub_i32 s22, 1, s19
	s_mul_i32 s22, s17, s22
	s_cmp_lt_i32 s17, 1
	s_cselect_b32 s22, s22, 0
	v_mul_lo_u32 v2, v0, s17
	v_add_u32_e32 v2, s22, v2
	s_lshl_b32 s17, s17, 9
	v_lshlrev_b32_e32 v4, 3, v0
	s_mov_b64 s[22:23], 0
	v_mov_b32_e32 v5, v0
.LBB8_2:                                ; =>This Inner Loop Header: Depth=1
	v_ashrrev_i32_e32 v3, 31, v2
	v_lshl_add_u64 v[6:7], v[2:3], 3, s[8:9]
	global_load_dwordx2 v[6:7], v[6:7], off
	v_add_u32_e32 v5, 0x200, v5
	v_cmp_le_i32_e32 vcc, s19, v5
	v_add_u32_e32 v2, s17, v2
	s_or_b64 s[22:23], vcc, s[22:23]
	s_waitcnt vmcnt(0)
	ds_write_b64 v4, v[6:7]
	v_add_u32_e32 v4, 0x1000, v4
	s_andn2_b64 exec, exec, s[22:23]
	s_cbranch_execnz .LBB8_2
.LBB8_3:
	s_or_b64 exec, exec, s[20:21]
	s_cmp_ge_i32 s16, s18
	s_waitcnt lgkmcnt(0)
	s_barrier
	s_cbranch_scc1 .LBB8_23
; %bb.4:
	s_load_dwordx2 s[8:9], s[0:1], 0x50
	s_load_dword s17, s[0:1], 0x48
	v_lshrrev_b32_e32 v3, 3, v0
	v_mbcnt_lo_u32_b32 v4, -1, 0
	v_and_b32_e32 v2, 63, v0
	s_waitcnt lgkmcnt(0)
	s_mul_i32 s1, s8, s3
	s_mul_hi_u32 s20, s8, s2
	s_mul_i32 s9, s9, s2
	s_add_i32 s1, s20, s1
	s_mul_i32 s0, s8, s2
	s_add_i32 s1, s1, s9
	s_lshl_b64 s[0:1], s[0:1], 3
	s_add_u32 s8, s14, s0
	s_addc_u32 s9, s15, s1
	s_lshl_b64 s[0:1], s[4:5], 3
	s_add_u32 s22, s8, s0
	s_addc_u32 s23, s9, s1
	s_mul_i32 s0, s12, s3
	s_mul_hi_u32 s1, s12, s2
	s_add_i32 s0, s1, s0
	s_mul_i32 s1, s13, s2
	s_add_i32 s1, s0, s1
	s_mul_i32 s0, s12, s2
	s_lshl_b64 s[0:1], s[0:1], 3
	s_add_u32 s0, s10, s0
	s_addc_u32 s1, s11, s1
	s_cmp_gt_i32 s19, 1
	v_mbcnt_hi_u32_b32 v11, -1, v4
	v_or_b32_e32 v13, 0x4000, v3
	v_mov_b32_e32 v3, 0x80
	s_cselect_b64 s[8:9], -1, 0
	v_cmp_eq_u32_e64 s[2:3], 0, v2
	v_cmp_eq_u32_e64 s[4:5], 0, v0
	v_mul_lo_u32 v10, v0, s17
	s_lshl_b32 s24, s17, 9
	v_mov_b32_e32 v2, 0
	v_and_b32_e32 v12, 63, v11
	v_mov_b32_e32 v14, 0x4008
	v_mov_b32_e32 v15, 0x4018
	;; [unrolled: 1-line block ×3, first 2 shown]
	v_lshl_or_b32 v17, v11, 2, v3
	s_branch .LBB8_6
.LBB8_5:                                ;   in Loop: Header=BB8_6 Depth=1
	s_or_b64 exec, exec, s[12:13]
	s_add_i32 s16, s16, 64
	s_cmp_ge_i32 s16, s18
	s_cbranch_scc1 .LBB8_23
.LBB8_6:                                ; =>This Loop Header: Depth=1
                                        ;     Child Loop BB8_8 Depth 2
                                        ;     Child Loop BB8_22 Depth 2
	s_ashr_i32 s17, s16, 31
	s_lshl_b64 s[10:11], s[16:17], 3
	s_add_u32 s10, s22, s10
	v_mov_b32_e32 v3, v2
	s_addc_u32 s11, s23, s11
	v_mov_b64_e32 v[4:5], v[2:3]
	s_and_saveexec_b64 s[12:13], s[6:7]
	s_cbranch_execz .LBB8_10
; %bb.7:                                ;   in Loop: Header=BB8_6 Depth=1
	v_mov_b32_e32 v4, 0
	s_mov_b64 s[14:15], 0
	v_mov_b32_e32 v6, v10
	v_mov_b32_e32 v3, v1
	;; [unrolled: 1-line block ×4, first 2 shown]
.LBB8_8:                                ;   Parent Loop BB8_6 Depth=1
                                        ; =>  This Inner Loop Header: Depth=2
	v_ashrrev_i32_e32 v7, 31, v6
	v_lshl_add_u64 v[18:19], v[6:7], 3, s[10:11]
	global_load_dwordx2 v[18:19], v[18:19], off
	ds_read_b64 v[20:21], v3
	v_add_u32_e32 v8, 0x200, v8
	v_cmp_le_i32_e32 vcc, s19, v8
	v_add_u32_e32 v3, 0x1000, v3
	v_add_u32_e32 v6, s24, v6
	s_or_b64 s[14:15], vcc, s[14:15]
	s_waitcnt vmcnt(0) lgkmcnt(0)
	v_pk_mul_f32 v[22:23], v[18:19], v[20:21] op_sel:[1,1] op_sel_hi:[0,1]
	v_pk_fma_f32 v[24:25], v[18:19], v[20:21], v[22:23] neg_lo:[0,0,1] neg_hi:[0,0,1]
	v_pk_fma_f32 v[18:19], v[18:19], v[20:21], v[22:23] op_sel_hi:[1,0,1]
	s_nop 0
	v_mov_b32_e32 v25, v19
	v_pk_add_f32 v[4:5], v[4:5], v[24:25]
	s_andn2_b64 exec, exec, s[14:15]
	s_cbranch_execnz .LBB8_8
; %bb.9:                                ;   in Loop: Header=BB8_6 Depth=1
	s_or_b64 exec, exec, s[14:15]
.LBB8_10:                               ;   in Loop: Header=BB8_6 Depth=1
	s_or_b64 exec, exec, s[12:13]
	s_and_b64 vcc, exec, s[8:9]
	s_cbranch_vccz .LBB8_17
; %bb.11:                               ;   in Loop: Header=BB8_6 Depth=1
	v_cmp_ne_u32_e32 vcc, 63, v12
	s_nop 1
	v_addc_co_u32_e32 v3, vcc, 0, v11, vcc
	v_lshlrev_b32_e32 v3, 2, v3
	ds_bpermute_b32 v6, v3, v4
	ds_bpermute_b32 v7, v3, v5
	v_cmp_gt_u32_e32 vcc, 62, v12
	s_waitcnt lgkmcnt(0)
	v_pk_add_f32 v[6:7], v[4:5], v[6:7]
	v_cndmask_b32_e64 v3, 0, 2, vcc
	v_add_lshl_u32 v3, v3, v11, 2
	ds_bpermute_b32 v8, v3, v6
	ds_bpermute_b32 v9, v3, v7
	v_cmp_gt_u32_e32 vcc, 60, v12
	s_waitcnt lgkmcnt(0)
	v_pk_add_f32 v[6:7], v[6:7], v[8:9]
	v_cndmask_b32_e64 v3, 0, 4, vcc
	v_add_lshl_u32 v3, v3, v11, 2
	;; [unrolled: 7-line block ×4, first 2 shown]
	ds_bpermute_b32 v8, v3, v6
	ds_bpermute_b32 v9, v3, v7
	s_waitcnt lgkmcnt(0)
	v_pk_add_f32 v[6:7], v[6:7], v[8:9]
	ds_bpermute_b32 v8, v17, v6
	ds_bpermute_b32 v9, v17, v7
	s_waitcnt lgkmcnt(0)
	v_pk_add_f32 v[6:7], v[6:7], v[8:9]
	s_and_saveexec_b64 s[12:13], s[2:3]
; %bb.12:                               ;   in Loop: Header=BB8_6 Depth=1
	ds_write2_b32 v13, v6, v7 offset1:1
; %bb.13:                               ;   in Loop: Header=BB8_6 Depth=1
	s_or_b64 exec, exec, s[12:13]
	s_mov_b64 s[14:15], 0
	s_mov_b64 s[12:13], 0
	s_waitcnt lgkmcnt(0)
	s_barrier
                                        ; implicit-def: $vgpr8_vgpr9
	s_and_saveexec_b64 s[20:21], s[4:5]
	s_xor_b64 s[20:21], exec, s[20:21]
	s_cbranch_execz .LBB8_15
; %bb.14:                               ;   in Loop: Header=BB8_6 Depth=1
	ds_read2_b64 v[18:21], v14 offset1:1
	ds_read2_b64 v[22:25], v15 offset1:1
	ds_read2_b64 v[26:29], v16 offset1:1
	ds_read_b64 v[8:9], v2 offset:16440
	s_mov_b64 s[12:13], exec
	s_waitcnt lgkmcnt(3)
	v_pk_add_f32 v[6:7], v[6:7], v[18:19]
	s_nop 0
	v_pk_add_f32 v[6:7], v[6:7], v[20:21]
	s_waitcnt lgkmcnt(2)
	v_pk_add_f32 v[6:7], v[6:7], v[22:23]
	s_nop 0
	v_pk_add_f32 v[6:7], v[6:7], v[24:25]
	;; [unrolled: 4-line block ×3, first 2 shown]
	s_waitcnt lgkmcnt(0)
	v_pk_add_f32 v[8:9], v[6:7], v[8:9]
.LBB8_15:                               ;   in Loop: Header=BB8_6 Depth=1
	s_or_b64 exec, exec, s[20:21]
	s_and_b64 vcc, exec, s[14:15]
	s_cbranch_vccnz .LBB8_18
.LBB8_16:                               ;   in Loop: Header=BB8_6 Depth=1
	v_mov_b64_e32 v[4:5], v[8:9]
	s_and_saveexec_b64 s[14:15], s[12:13]
	s_cbranch_execnz .LBB8_19
	s_branch .LBB8_20
.LBB8_17:                               ;   in Loop: Header=BB8_6 Depth=1
	s_mov_b64 s[12:13], 0
                                        ; implicit-def: $vgpr8_vgpr9
	s_cbranch_execz .LBB8_16
.LBB8_18:                               ;   in Loop: Header=BB8_6 Depth=1
	s_andn2_b64 s[12:13], s[12:13], exec
	s_and_b64 s[14:15], s[4:5], exec
	s_or_b64 s[12:13], s[12:13], s[14:15]
	s_and_saveexec_b64 s[14:15], s[12:13]
.LBB8_19:                               ;   in Loop: Header=BB8_6 Depth=1
	ds_write_b64 v2, v[4:5] offset:16384
.LBB8_20:                               ;   in Loop: Header=BB8_6 Depth=1
	s_or_b64 exec, exec, s[14:15]
	s_waitcnt lgkmcnt(0)
	s_barrier
	s_and_saveexec_b64 s[12:13], s[6:7]
	s_cbranch_execz .LBB8_5
; %bb.21:                               ;   in Loop: Header=BB8_6 Depth=1
	global_load_dwordx2 v[6:7], v2, s[0:1]
	ds_read_b64 v[8:9], v2 offset:16384
	s_mov_b64 s[14:15], 0
	v_mov_b32_e32 v3, v1
	v_mov_b32_e32 v4, v10
	s_waitcnt vmcnt(0) lgkmcnt(0)
	v_mul_f32_e32 v5, v6, v8
	v_mul_f32_e32 v18, v6, v9
	v_fma_f32 v6, v7, v9, -v5
	v_fma_f32 v8, v8, -v7, -v18
	v_mov_b32_e32 v9, v8
	v_mov_b32_e32 v7, v6
	;; [unrolled: 1-line block ×3, first 2 shown]
.LBB8_22:                               ;   Parent Loop BB8_6 Depth=1
                                        ; =>  This Inner Loop Header: Depth=2
	v_ashrrev_i32_e32 v5, 31, v4
	v_lshl_add_u64 v[20:21], v[4:5], 3, s[10:11]
	global_load_dwordx2 v[22:23], v[20:21], off
	ds_read_b64 v[24:25], v3
	v_add_u32_e32 v18, 0x200, v18
	v_cmp_le_i32_e32 vcc, s19, v18
	v_add_u32_e32 v3, 0x1000, v3
	v_add_u32_e32 v4, s24, v4
	s_waitcnt lgkmcnt(0)
	v_pk_mul_f32 v[26:27], v[6:7], v[24:25]
	s_or_b64 s[14:15], vcc, s[14:15]
	v_pk_fma_f32 v[28:29], v[8:9], v[24:25], v[26:27] op_sel:[0,1,0] op_sel_hi:[1,0,1]
	v_pk_fma_f32 v[24:25], v[8:9], v[24:25], v[26:27] op_sel:[0,1,0] op_sel_hi:[1,0,1] neg_lo:[0,0,1] neg_hi:[0,0,1]
	s_nop 0
	v_mov_b32_e32 v29, v25
	s_waitcnt vmcnt(0)
	v_pk_add_f32 v[22:23], v[22:23], v[28:29]
	global_store_dwordx2 v[20:21], v[22:23], off
	s_andn2_b64 exec, exec, s[14:15]
	s_cbranch_execnz .LBB8_22
	s_branch .LBB8_5
.LBB8_23:
	s_endpgm
	.section	.rodata,"a",@progbits
	.p2align	6, 0x0
	.amdhsa_kernel _ZN9rocsolver6v33100L23larf_right_kernel_smallILi512E19rocblas_complex_numIfEiPS3_EEvT1_S5_T2_lS5_lPKT0_lS6_lS5_l
		.amdhsa_group_segment_fixed_size 16448
		.amdhsa_private_segment_fixed_size 0
		.amdhsa_kernarg_size 88
		.amdhsa_user_sgpr_count 2
		.amdhsa_user_sgpr_dispatch_ptr 0
		.amdhsa_user_sgpr_queue_ptr 0
		.amdhsa_user_sgpr_kernarg_segment_ptr 1
		.amdhsa_user_sgpr_dispatch_id 0
		.amdhsa_user_sgpr_kernarg_preload_length 0
		.amdhsa_user_sgpr_kernarg_preload_offset 0
		.amdhsa_user_sgpr_private_segment_size 0
		.amdhsa_uses_dynamic_stack 0
		.amdhsa_enable_private_segment 0
		.amdhsa_system_sgpr_workgroup_id_x 1
		.amdhsa_system_sgpr_workgroup_id_y 1
		.amdhsa_system_sgpr_workgroup_id_z 0
		.amdhsa_system_sgpr_workgroup_info 0
		.amdhsa_system_vgpr_workitem_id 0
		.amdhsa_next_free_vgpr 30
		.amdhsa_next_free_sgpr 28
		.amdhsa_accum_offset 32
		.amdhsa_reserve_vcc 1
		.amdhsa_float_round_mode_32 0
		.amdhsa_float_round_mode_16_64 0
		.amdhsa_float_denorm_mode_32 3
		.amdhsa_float_denorm_mode_16_64 3
		.amdhsa_dx10_clamp 1
		.amdhsa_ieee_mode 1
		.amdhsa_fp16_overflow 0
		.amdhsa_tg_split 0
		.amdhsa_exception_fp_ieee_invalid_op 0
		.amdhsa_exception_fp_denorm_src 0
		.amdhsa_exception_fp_ieee_div_zero 0
		.amdhsa_exception_fp_ieee_overflow 0
		.amdhsa_exception_fp_ieee_underflow 0
		.amdhsa_exception_fp_ieee_inexact 0
		.amdhsa_exception_int_div_zero 0
	.end_amdhsa_kernel
	.section	.text._ZN9rocsolver6v33100L23larf_right_kernel_smallILi512E19rocblas_complex_numIfEiPS3_EEvT1_S5_T2_lS5_lPKT0_lS6_lS5_l,"axG",@progbits,_ZN9rocsolver6v33100L23larf_right_kernel_smallILi512E19rocblas_complex_numIfEiPS3_EEvT1_S5_T2_lS5_lPKT0_lS6_lS5_l,comdat
.Lfunc_end8:
	.size	_ZN9rocsolver6v33100L23larf_right_kernel_smallILi512E19rocblas_complex_numIfEiPS3_EEvT1_S5_T2_lS5_lPKT0_lS6_lS5_l, .Lfunc_end8-_ZN9rocsolver6v33100L23larf_right_kernel_smallILi512E19rocblas_complex_numIfEiPS3_EEvT1_S5_T2_lS5_lPKT0_lS6_lS5_l
                                        ; -- End function
	.set _ZN9rocsolver6v33100L23larf_right_kernel_smallILi512E19rocblas_complex_numIfEiPS3_EEvT1_S5_T2_lS5_lPKT0_lS6_lS5_l.num_vgpr, 30
	.set _ZN9rocsolver6v33100L23larf_right_kernel_smallILi512E19rocblas_complex_numIfEiPS3_EEvT1_S5_T2_lS5_lPKT0_lS6_lS5_l.num_agpr, 0
	.set _ZN9rocsolver6v33100L23larf_right_kernel_smallILi512E19rocblas_complex_numIfEiPS3_EEvT1_S5_T2_lS5_lPKT0_lS6_lS5_l.numbered_sgpr, 28
	.set _ZN9rocsolver6v33100L23larf_right_kernel_smallILi512E19rocblas_complex_numIfEiPS3_EEvT1_S5_T2_lS5_lPKT0_lS6_lS5_l.num_named_barrier, 0
	.set _ZN9rocsolver6v33100L23larf_right_kernel_smallILi512E19rocblas_complex_numIfEiPS3_EEvT1_S5_T2_lS5_lPKT0_lS6_lS5_l.private_seg_size, 0
	.set _ZN9rocsolver6v33100L23larf_right_kernel_smallILi512E19rocblas_complex_numIfEiPS3_EEvT1_S5_T2_lS5_lPKT0_lS6_lS5_l.uses_vcc, 1
	.set _ZN9rocsolver6v33100L23larf_right_kernel_smallILi512E19rocblas_complex_numIfEiPS3_EEvT1_S5_T2_lS5_lPKT0_lS6_lS5_l.uses_flat_scratch, 0
	.set _ZN9rocsolver6v33100L23larf_right_kernel_smallILi512E19rocblas_complex_numIfEiPS3_EEvT1_S5_T2_lS5_lPKT0_lS6_lS5_l.has_dyn_sized_stack, 0
	.set _ZN9rocsolver6v33100L23larf_right_kernel_smallILi512E19rocblas_complex_numIfEiPS3_EEvT1_S5_T2_lS5_lPKT0_lS6_lS5_l.has_recursion, 0
	.set _ZN9rocsolver6v33100L23larf_right_kernel_smallILi512E19rocblas_complex_numIfEiPS3_EEvT1_S5_T2_lS5_lPKT0_lS6_lS5_l.has_indirect_call, 0
	.section	.AMDGPU.csdata,"",@progbits
; Kernel info:
; codeLenInByte = 1380
; TotalNumSgprs: 34
; NumVgprs: 30
; NumAgprs: 0
; TotalNumVgprs: 30
; ScratchSize: 0
; MemoryBound: 0
; FloatMode: 240
; IeeeMode: 1
; LDSByteSize: 16448 bytes/workgroup (compile time only)
; SGPRBlocks: 4
; VGPRBlocks: 3
; NumSGPRsForWavesPerEU: 34
; NumVGPRsForWavesPerEU: 30
; AccumOffset: 32
; Occupancy: 8
; WaveLimiterHint : 0
; COMPUTE_PGM_RSRC2:SCRATCH_EN: 0
; COMPUTE_PGM_RSRC2:USER_SGPR: 2
; COMPUTE_PGM_RSRC2:TRAP_HANDLER: 0
; COMPUTE_PGM_RSRC2:TGID_X_EN: 1
; COMPUTE_PGM_RSRC2:TGID_Y_EN: 1
; COMPUTE_PGM_RSRC2:TGID_Z_EN: 0
; COMPUTE_PGM_RSRC2:TIDIG_COMP_CNT: 0
; COMPUTE_PGM_RSRC3_GFX90A:ACCUM_OFFSET: 7
; COMPUTE_PGM_RSRC3_GFX90A:TG_SPLIT: 0
	.section	.text._ZN9rocsolver6v33100L23larf_right_kernel_smallILi1024E19rocblas_complex_numIfEiPS3_EEvT1_S5_T2_lS5_lPKT0_lS6_lS5_l,"axG",@progbits,_ZN9rocsolver6v33100L23larf_right_kernel_smallILi1024E19rocblas_complex_numIfEiPS3_EEvT1_S5_T2_lS5_lPKT0_lS6_lS5_l,comdat
	.globl	_ZN9rocsolver6v33100L23larf_right_kernel_smallILi1024E19rocblas_complex_numIfEiPS3_EEvT1_S5_T2_lS5_lPKT0_lS6_lS5_l ; -- Begin function _ZN9rocsolver6v33100L23larf_right_kernel_smallILi1024E19rocblas_complex_numIfEiPS3_EEvT1_S5_T2_lS5_lPKT0_lS6_lS5_l
	.p2align	8
	.type	_ZN9rocsolver6v33100L23larf_right_kernel_smallILi1024E19rocblas_complex_numIfEiPS3_EEvT1_S5_T2_lS5_lPKT0_lS6_lS5_l,@function
_ZN9rocsolver6v33100L23larf_right_kernel_smallILi1024E19rocblas_complex_numIfEiPS3_EEvT1_S5_T2_lS5_lPKT0_lS6_lS5_l: ; @_ZN9rocsolver6v33100L23larf_right_kernel_smallILi1024E19rocblas_complex_numIfEiPS3_EEvT1_S5_T2_lS5_lPKT0_lS6_lS5_l
; %bb.0:
	s_load_dwordx2 s[18:19], s[0:1], 0x0
	s_load_dwordx8 s[8:15], s[0:1], 0x20
	s_load_dwordx2 s[4:5], s[0:1], 0x40
	s_mov_b32 s16, s3
	s_ashr_i32 s3, s2, 31
	s_waitcnt lgkmcnt(0)
	v_cmp_gt_i32_e64 s[6:7], s19, v0
	v_lshlrev_b32_e32 v1, 3, v0
	s_and_saveexec_b64 s[20:21], s[6:7]
	s_cbranch_execz .LBB9_3
; %bb.1:
	s_load_dwordx4 s[24:27], s[0:1], 0x8
	s_load_dword s17, s[0:1], 0x18
	s_mul_i32 s22, s8, s3
	s_mul_hi_u32 s23, s8, s2
	s_add_i32 s22, s23, s22
	s_mul_i32 s9, s9, s2
	s_add_i32 s9, s22, s9
	s_mul_i32 s8, s8, s2
	s_lshl_b64 s[8:9], s[8:9], 3
	s_waitcnt lgkmcnt(0)
	s_add_u32 s22, s24, s8
	s_addc_u32 s23, s25, s9
	s_lshl_b64 s[8:9], s[26:27], 3
	s_add_u32 s8, s22, s8
	s_addc_u32 s9, s23, s9
	s_sub_i32 s22, 1, s19
	s_mul_i32 s22, s17, s22
	s_cmp_lt_i32 s17, 1
	s_cselect_b32 s22, s22, 0
	v_mul_lo_u32 v2, v0, s17
	v_add_u32_e32 v2, s22, v2
	s_lshl_b32 s17, s17, 10
	v_lshlrev_b32_e32 v4, 3, v0
	s_mov_b64 s[22:23], 0
	v_mov_b32_e32 v5, v0
.LBB9_2:                                ; =>This Inner Loop Header: Depth=1
	v_ashrrev_i32_e32 v3, 31, v2
	v_lshl_add_u64 v[6:7], v[2:3], 3, s[8:9]
	global_load_dwordx2 v[6:7], v[6:7], off
	v_add_u32_e32 v5, 0x400, v5
	v_cmp_le_i32_e32 vcc, s19, v5
	v_add_u32_e32 v2, s17, v2
	s_or_b64 s[22:23], vcc, s[22:23]
	s_waitcnt vmcnt(0)
	ds_write_b64 v4, v[6:7]
	v_add_u32_e32 v4, 0x2000, v4
	s_andn2_b64 exec, exec, s[22:23]
	s_cbranch_execnz .LBB9_2
.LBB9_3:
	s_or_b64 exec, exec, s[20:21]
	s_cmp_ge_i32 s16, s18
	s_waitcnt lgkmcnt(0)
	s_barrier
	s_cbranch_scc1 .LBB9_23
; %bb.4:
	s_load_dwordx2 s[8:9], s[0:1], 0x50
	s_load_dword s17, s[0:1], 0x48
	v_lshrrev_b32_e32 v3, 3, v0
	v_mbcnt_lo_u32_b32 v4, -1, 0
	v_and_b32_e32 v2, 63, v0
	s_waitcnt lgkmcnt(0)
	s_mul_i32 s1, s8, s3
	s_mul_hi_u32 s20, s8, s2
	s_mul_i32 s9, s9, s2
	s_add_i32 s1, s20, s1
	s_mul_i32 s0, s8, s2
	s_add_i32 s1, s1, s9
	s_lshl_b64 s[0:1], s[0:1], 3
	s_add_u32 s8, s14, s0
	s_addc_u32 s9, s15, s1
	s_lshl_b64 s[0:1], s[4:5], 3
	s_add_u32 s22, s8, s0
	s_addc_u32 s23, s9, s1
	s_mul_i32 s0, s12, s3
	s_mul_hi_u32 s1, s12, s2
	s_add_i32 s0, s1, s0
	s_mul_i32 s1, s13, s2
	s_add_i32 s1, s0, s1
	s_mul_i32 s0, s12, s2
	s_lshl_b64 s[0:1], s[0:1], 3
	s_add_u32 s0, s10, s0
	s_addc_u32 s1, s11, s1
	s_cmp_gt_i32 s19, 1
	v_mbcnt_hi_u32_b32 v11, -1, v4
	v_or_b32_e32 v13, 0x4000, v3
	v_mov_b32_e32 v3, 0x80
	s_cselect_b64 s[8:9], -1, 0
	v_cmp_eq_u32_e64 s[2:3], 0, v2
	v_cmp_eq_u32_e64 s[4:5], 0, v0
	v_mul_lo_u32 v10, v0, s17
	s_lshl_b32 s24, s17, 10
	v_mov_b32_e32 v2, 0
	v_and_b32_e32 v12, 63, v11
	v_mov_b32_e32 v14, 0x4008
	v_mov_b32_e32 v15, 0x4018
	;; [unrolled: 1-line block ×7, first 2 shown]
	v_lshl_or_b32 v21, v11, 2, v3
	s_branch .LBB9_6
.LBB9_5:                                ;   in Loop: Header=BB9_6 Depth=1
	s_or_b64 exec, exec, s[12:13]
	s_add_i32 s16, s16, 64
	s_cmp_ge_i32 s16, s18
	s_cbranch_scc1 .LBB9_23
.LBB9_6:                                ; =>This Loop Header: Depth=1
                                        ;     Child Loop BB9_8 Depth 2
                                        ;     Child Loop BB9_22 Depth 2
	s_ashr_i32 s17, s16, 31
	s_lshl_b64 s[10:11], s[16:17], 3
	s_add_u32 s10, s22, s10
	v_mov_b32_e32 v3, v2
	s_addc_u32 s11, s23, s11
	v_mov_b64_e32 v[4:5], v[2:3]
	s_and_saveexec_b64 s[12:13], s[6:7]
	s_cbranch_execz .LBB9_10
; %bb.7:                                ;   in Loop: Header=BB9_6 Depth=1
	v_mov_b32_e32 v4, 0
	s_mov_b64 s[14:15], 0
	v_mov_b32_e32 v6, v10
	v_mov_b32_e32 v3, v1
	;; [unrolled: 1-line block ×4, first 2 shown]
.LBB9_8:                                ;   Parent Loop BB9_6 Depth=1
                                        ; =>  This Inner Loop Header: Depth=2
	v_ashrrev_i32_e32 v7, 31, v6
	v_lshl_add_u64 v[22:23], v[6:7], 3, s[10:11]
	global_load_dwordx2 v[22:23], v[22:23], off
	ds_read_b64 v[24:25], v3
	v_add_u32_e32 v8, 0x400, v8
	v_cmp_le_i32_e32 vcc, s19, v8
	v_add_u32_e32 v3, 0x2000, v3
	v_add_u32_e32 v6, s24, v6
	s_or_b64 s[14:15], vcc, s[14:15]
	s_waitcnt vmcnt(0) lgkmcnt(0)
	v_pk_mul_f32 v[26:27], v[22:23], v[24:25] op_sel:[1,1] op_sel_hi:[0,1]
	v_pk_fma_f32 v[28:29], v[22:23], v[24:25], v[26:27] neg_lo:[0,0,1] neg_hi:[0,0,1]
	v_pk_fma_f32 v[22:23], v[22:23], v[24:25], v[26:27] op_sel_hi:[1,0,1]
	s_nop 0
	v_mov_b32_e32 v29, v23
	v_pk_add_f32 v[4:5], v[4:5], v[28:29]
	s_andn2_b64 exec, exec, s[14:15]
	s_cbranch_execnz .LBB9_8
; %bb.9:                                ;   in Loop: Header=BB9_6 Depth=1
	s_or_b64 exec, exec, s[14:15]
.LBB9_10:                               ;   in Loop: Header=BB9_6 Depth=1
	s_or_b64 exec, exec, s[12:13]
	s_and_b64 vcc, exec, s[8:9]
	s_cbranch_vccz .LBB9_17
; %bb.11:                               ;   in Loop: Header=BB9_6 Depth=1
	v_cmp_ne_u32_e32 vcc, 63, v12
	s_nop 1
	v_addc_co_u32_e32 v3, vcc, 0, v11, vcc
	v_lshlrev_b32_e32 v3, 2, v3
	ds_bpermute_b32 v6, v3, v4
	ds_bpermute_b32 v7, v3, v5
	v_cmp_gt_u32_e32 vcc, 62, v12
	s_waitcnt lgkmcnt(0)
	v_pk_add_f32 v[6:7], v[4:5], v[6:7]
	v_cndmask_b32_e64 v3, 0, 2, vcc
	v_add_lshl_u32 v3, v3, v11, 2
	ds_bpermute_b32 v8, v3, v6
	ds_bpermute_b32 v9, v3, v7
	v_cmp_gt_u32_e32 vcc, 60, v12
	s_waitcnt lgkmcnt(0)
	v_pk_add_f32 v[6:7], v[6:7], v[8:9]
	v_cndmask_b32_e64 v3, 0, 4, vcc
	v_add_lshl_u32 v3, v3, v11, 2
	ds_bpermute_b32 v8, v3, v6
	ds_bpermute_b32 v9, v3, v7
	v_cmp_gt_u32_e32 vcc, 56, v12
	s_waitcnt lgkmcnt(0)
	v_pk_add_f32 v[6:7], v[6:7], v[8:9]
	v_cndmask_b32_e64 v3, 0, 8, vcc
	v_add_lshl_u32 v3, v3, v11, 2
	ds_bpermute_b32 v8, v3, v6
	ds_bpermute_b32 v9, v3, v7
	v_cmp_gt_u32_e32 vcc, 48, v12
	s_waitcnt lgkmcnt(0)
	v_pk_add_f32 v[6:7], v[6:7], v[8:9]
	v_cndmask_b32_e64 v3, 0, 16, vcc
	v_add_lshl_u32 v3, v3, v11, 2
	ds_bpermute_b32 v8, v3, v6
	ds_bpermute_b32 v9, v3, v7
	s_waitcnt lgkmcnt(0)
	v_pk_add_f32 v[6:7], v[6:7], v[8:9]
	ds_bpermute_b32 v8, v21, v6
	ds_bpermute_b32 v9, v21, v7
	s_waitcnt lgkmcnt(0)
	v_pk_add_f32 v[6:7], v[6:7], v[8:9]
	s_and_saveexec_b64 s[12:13], s[2:3]
; %bb.12:                               ;   in Loop: Header=BB9_6 Depth=1
	ds_write2_b32 v13, v6, v7 offset1:1
; %bb.13:                               ;   in Loop: Header=BB9_6 Depth=1
	s_or_b64 exec, exec, s[12:13]
	s_mov_b64 s[14:15], 0
	s_mov_b64 s[12:13], 0
	s_waitcnt lgkmcnt(0)
	s_barrier
                                        ; implicit-def: $vgpr8_vgpr9
	s_and_saveexec_b64 s[20:21], s[4:5]
	s_xor_b64 s[20:21], exec, s[20:21]
	s_cbranch_execz .LBB9_15
; %bb.14:                               ;   in Loop: Header=BB9_6 Depth=1
	ds_read2_b64 v[22:25], v14 offset1:1
	ds_read2_b64 v[26:29], v15 offset1:1
	ds_read2_b64 v[30:33], v16 offset1:1
	ds_read_b64 v[34:35], v2 offset:16504
	s_mov_b64 s[12:13], exec
	s_waitcnt lgkmcnt(3)
	v_pk_add_f32 v[6:7], v[6:7], v[22:23]
	s_nop 0
	v_pk_add_f32 v[6:7], v[6:7], v[24:25]
	s_waitcnt lgkmcnt(2)
	v_pk_add_f32 v[22:23], v[6:7], v[26:27]
	ds_read2_b64 v[6:9], v17 offset1:1
	v_pk_add_f32 v[22:23], v[22:23], v[28:29]
	s_waitcnt lgkmcnt(2)
	v_pk_add_f32 v[22:23], v[22:23], v[30:31]
	s_nop 0
	v_pk_add_f32 v[26:27], v[22:23], v[32:33]
	ds_read2_b64 v[22:25], v18 offset1:1
	s_waitcnt lgkmcnt(1)
	v_pk_add_f32 v[6:7], v[26:27], v[6:7]
	ds_read2_b64 v[26:29], v19 offset1:1
	v_pk_add_f32 v[30:31], v[6:7], v[8:9]
	ds_read2_b64 v[6:9], v20 offset1:1
	s_waitcnt lgkmcnt(2)
	v_pk_add_f32 v[22:23], v[30:31], v[22:23]
	s_nop 0
	v_pk_add_f32 v[22:23], v[22:23], v[24:25]
	s_waitcnt lgkmcnt(1)
	v_pk_add_f32 v[22:23], v[22:23], v[26:27]
	s_nop 0
	v_pk_add_f32 v[22:23], v[22:23], v[28:29]
	;; [unrolled: 4-line block ×3, first 2 shown]
	s_nop 0
	v_pk_add_f32 v[8:9], v[6:7], v[34:35]
.LBB9_15:                               ;   in Loop: Header=BB9_6 Depth=1
	s_or_b64 exec, exec, s[20:21]
	s_and_b64 vcc, exec, s[14:15]
	s_cbranch_vccnz .LBB9_18
.LBB9_16:                               ;   in Loop: Header=BB9_6 Depth=1
	v_mov_b64_e32 v[4:5], v[8:9]
	s_and_saveexec_b64 s[14:15], s[12:13]
	s_cbranch_execnz .LBB9_19
	s_branch .LBB9_20
.LBB9_17:                               ;   in Loop: Header=BB9_6 Depth=1
	s_mov_b64 s[12:13], 0
                                        ; implicit-def: $vgpr8_vgpr9
	s_cbranch_execz .LBB9_16
.LBB9_18:                               ;   in Loop: Header=BB9_6 Depth=1
	s_andn2_b64 s[12:13], s[12:13], exec
	s_and_b64 s[14:15], s[4:5], exec
	s_or_b64 s[12:13], s[12:13], s[14:15]
	s_and_saveexec_b64 s[14:15], s[12:13]
.LBB9_19:                               ;   in Loop: Header=BB9_6 Depth=1
	ds_write_b64 v2, v[4:5] offset:16384
.LBB9_20:                               ;   in Loop: Header=BB9_6 Depth=1
	s_or_b64 exec, exec, s[14:15]
	s_waitcnt lgkmcnt(0)
	s_barrier
	s_and_saveexec_b64 s[12:13], s[6:7]
	s_cbranch_execz .LBB9_5
; %bb.21:                               ;   in Loop: Header=BB9_6 Depth=1
	global_load_dwordx2 v[6:7], v2, s[0:1]
	ds_read_b64 v[8:9], v2 offset:16384
	s_mov_b64 s[14:15], 0
	v_mov_b32_e32 v3, v1
	v_mov_b32_e32 v4, v10
	s_waitcnt vmcnt(0) lgkmcnt(0)
	v_mul_f32_e32 v5, v6, v8
	v_mul_f32_e32 v22, v6, v9
	v_fma_f32 v6, v7, v9, -v5
	v_fma_f32 v8, v8, -v7, -v22
	v_mov_b32_e32 v9, v8
	v_mov_b32_e32 v7, v6
	;; [unrolled: 1-line block ×3, first 2 shown]
.LBB9_22:                               ;   Parent Loop BB9_6 Depth=1
                                        ; =>  This Inner Loop Header: Depth=2
	v_ashrrev_i32_e32 v5, 31, v4
	v_lshl_add_u64 v[24:25], v[4:5], 3, s[10:11]
	global_load_dwordx2 v[26:27], v[24:25], off
	ds_read_b64 v[28:29], v3
	v_add_u32_e32 v22, 0x400, v22
	v_cmp_le_i32_e32 vcc, s19, v22
	v_add_u32_e32 v3, 0x2000, v3
	v_add_u32_e32 v4, s24, v4
	s_waitcnt lgkmcnt(0)
	v_pk_mul_f32 v[30:31], v[6:7], v[28:29]
	s_or_b64 s[14:15], vcc, s[14:15]
	v_pk_fma_f32 v[32:33], v[8:9], v[28:29], v[30:31] op_sel:[0,1,0] op_sel_hi:[1,0,1]
	v_pk_fma_f32 v[28:29], v[8:9], v[28:29], v[30:31] op_sel:[0,1,0] op_sel_hi:[1,0,1] neg_lo:[0,0,1] neg_hi:[0,0,1]
	s_nop 0
	v_mov_b32_e32 v33, v29
	s_waitcnt vmcnt(0)
	v_pk_add_f32 v[26:27], v[26:27], v[32:33]
	global_store_dwordx2 v[24:25], v[26:27], off
	s_andn2_b64 exec, exec, s[14:15]
	s_cbranch_execnz .LBB9_22
	s_branch .LBB9_5
.LBB9_23:
	s_endpgm
	.section	.rodata,"a",@progbits
	.p2align	6, 0x0
	.amdhsa_kernel _ZN9rocsolver6v33100L23larf_right_kernel_smallILi1024E19rocblas_complex_numIfEiPS3_EEvT1_S5_T2_lS5_lPKT0_lS6_lS5_l
		.amdhsa_group_segment_fixed_size 16512
		.amdhsa_private_segment_fixed_size 0
		.amdhsa_kernarg_size 88
		.amdhsa_user_sgpr_count 2
		.amdhsa_user_sgpr_dispatch_ptr 0
		.amdhsa_user_sgpr_queue_ptr 0
		.amdhsa_user_sgpr_kernarg_segment_ptr 1
		.amdhsa_user_sgpr_dispatch_id 0
		.amdhsa_user_sgpr_kernarg_preload_length 0
		.amdhsa_user_sgpr_kernarg_preload_offset 0
		.amdhsa_user_sgpr_private_segment_size 0
		.amdhsa_uses_dynamic_stack 0
		.amdhsa_enable_private_segment 0
		.amdhsa_system_sgpr_workgroup_id_x 1
		.amdhsa_system_sgpr_workgroup_id_y 1
		.amdhsa_system_sgpr_workgroup_id_z 0
		.amdhsa_system_sgpr_workgroup_info 0
		.amdhsa_system_vgpr_workitem_id 0
		.amdhsa_next_free_vgpr 36
		.amdhsa_next_free_sgpr 28
		.amdhsa_accum_offset 36
		.amdhsa_reserve_vcc 1
		.amdhsa_float_round_mode_32 0
		.amdhsa_float_round_mode_16_64 0
		.amdhsa_float_denorm_mode_32 3
		.amdhsa_float_denorm_mode_16_64 3
		.amdhsa_dx10_clamp 1
		.amdhsa_ieee_mode 1
		.amdhsa_fp16_overflow 0
		.amdhsa_tg_split 0
		.amdhsa_exception_fp_ieee_invalid_op 0
		.amdhsa_exception_fp_denorm_src 0
		.amdhsa_exception_fp_ieee_div_zero 0
		.amdhsa_exception_fp_ieee_overflow 0
		.amdhsa_exception_fp_ieee_underflow 0
		.amdhsa_exception_fp_ieee_inexact 0
		.amdhsa_exception_int_div_zero 0
	.end_amdhsa_kernel
	.section	.text._ZN9rocsolver6v33100L23larf_right_kernel_smallILi1024E19rocblas_complex_numIfEiPS3_EEvT1_S5_T2_lS5_lPKT0_lS6_lS5_l,"axG",@progbits,_ZN9rocsolver6v33100L23larf_right_kernel_smallILi1024E19rocblas_complex_numIfEiPS3_EEvT1_S5_T2_lS5_lPKT0_lS6_lS5_l,comdat
.Lfunc_end9:
	.size	_ZN9rocsolver6v33100L23larf_right_kernel_smallILi1024E19rocblas_complex_numIfEiPS3_EEvT1_S5_T2_lS5_lPKT0_lS6_lS5_l, .Lfunc_end9-_ZN9rocsolver6v33100L23larf_right_kernel_smallILi1024E19rocblas_complex_numIfEiPS3_EEvT1_S5_T2_lS5_lPKT0_lS6_lS5_l
                                        ; -- End function
	.set _ZN9rocsolver6v33100L23larf_right_kernel_smallILi1024E19rocblas_complex_numIfEiPS3_EEvT1_S5_T2_lS5_lPKT0_lS6_lS5_l.num_vgpr, 36
	.set _ZN9rocsolver6v33100L23larf_right_kernel_smallILi1024E19rocblas_complex_numIfEiPS3_EEvT1_S5_T2_lS5_lPKT0_lS6_lS5_l.num_agpr, 0
	.set _ZN9rocsolver6v33100L23larf_right_kernel_smallILi1024E19rocblas_complex_numIfEiPS3_EEvT1_S5_T2_lS5_lPKT0_lS6_lS5_l.numbered_sgpr, 28
	.set _ZN9rocsolver6v33100L23larf_right_kernel_smallILi1024E19rocblas_complex_numIfEiPS3_EEvT1_S5_T2_lS5_lPKT0_lS6_lS5_l.num_named_barrier, 0
	.set _ZN9rocsolver6v33100L23larf_right_kernel_smallILi1024E19rocblas_complex_numIfEiPS3_EEvT1_S5_T2_lS5_lPKT0_lS6_lS5_l.private_seg_size, 0
	.set _ZN9rocsolver6v33100L23larf_right_kernel_smallILi1024E19rocblas_complex_numIfEiPS3_EEvT1_S5_T2_lS5_lPKT0_lS6_lS5_l.uses_vcc, 1
	.set _ZN9rocsolver6v33100L23larf_right_kernel_smallILi1024E19rocblas_complex_numIfEiPS3_EEvT1_S5_T2_lS5_lPKT0_lS6_lS5_l.uses_flat_scratch, 0
	.set _ZN9rocsolver6v33100L23larf_right_kernel_smallILi1024E19rocblas_complex_numIfEiPS3_EEvT1_S5_T2_lS5_lPKT0_lS6_lS5_l.has_dyn_sized_stack, 0
	.set _ZN9rocsolver6v33100L23larf_right_kernel_smallILi1024E19rocblas_complex_numIfEiPS3_EEvT1_S5_T2_lS5_lPKT0_lS6_lS5_l.has_recursion, 0
	.set _ZN9rocsolver6v33100L23larf_right_kernel_smallILi1024E19rocblas_complex_numIfEiPS3_EEvT1_S5_T2_lS5_lPKT0_lS6_lS5_l.has_indirect_call, 0
	.section	.AMDGPU.csdata,"",@progbits
; Kernel info:
; codeLenInByte = 1532
; TotalNumSgprs: 34
; NumVgprs: 36
; NumAgprs: 0
; TotalNumVgprs: 36
; ScratchSize: 0
; MemoryBound: 0
; FloatMode: 240
; IeeeMode: 1
; LDSByteSize: 16512 bytes/workgroup (compile time only)
; SGPRBlocks: 4
; VGPRBlocks: 4
; NumSGPRsForWavesPerEU: 34
; NumVGPRsForWavesPerEU: 36
; AccumOffset: 36
; Occupancy: 8
; WaveLimiterHint : 0
; COMPUTE_PGM_RSRC2:SCRATCH_EN: 0
; COMPUTE_PGM_RSRC2:USER_SGPR: 2
; COMPUTE_PGM_RSRC2:TRAP_HANDLER: 0
; COMPUTE_PGM_RSRC2:TGID_X_EN: 1
; COMPUTE_PGM_RSRC2:TGID_Y_EN: 1
; COMPUTE_PGM_RSRC2:TGID_Z_EN: 0
; COMPUTE_PGM_RSRC2:TIDIG_COMP_CNT: 0
; COMPUTE_PGM_RSRC3_GFX90A:ACCUM_OFFSET: 8
; COMPUTE_PGM_RSRC3_GFX90A:TG_SPLIT: 0
	.section	.text._ZN9rocsolver6v33100L22larf_left_kernel_smallILi64E19rocblas_complex_numIfEiPKPS3_EEvT1_S7_T2_lS7_lPKT0_lS8_lS7_l,"axG",@progbits,_ZN9rocsolver6v33100L22larf_left_kernel_smallILi64E19rocblas_complex_numIfEiPKPS3_EEvT1_S7_T2_lS7_lPKT0_lS8_lS7_l,comdat
	.globl	_ZN9rocsolver6v33100L22larf_left_kernel_smallILi64E19rocblas_complex_numIfEiPKPS3_EEvT1_S7_T2_lS7_lPKT0_lS8_lS7_l ; -- Begin function _ZN9rocsolver6v33100L22larf_left_kernel_smallILi64E19rocblas_complex_numIfEiPKPS3_EEvT1_S7_T2_lS7_lPKT0_lS8_lS7_l
	.p2align	8
	.type	_ZN9rocsolver6v33100L22larf_left_kernel_smallILi64E19rocblas_complex_numIfEiPKPS3_EEvT1_S7_T2_lS7_lPKT0_lS8_lS7_l,@function
_ZN9rocsolver6v33100L22larf_left_kernel_smallILi64E19rocblas_complex_numIfEiPKPS3_EEvT1_S7_T2_lS7_lPKT0_lS8_lS7_l: ; @_ZN9rocsolver6v33100L22larf_left_kernel_smallILi64E19rocblas_complex_numIfEiPKPS3_EEvT1_S7_T2_lS7_lPKT0_lS8_lS7_l
; %bb.0:
	s_load_dwordx8 s[16:23], s[0:1], 0x28
	s_load_dwordx2 s[14:15], s[0:1], 0x0
	s_mov_b32 s12, s3
	s_ashr_i32 s3, s2, 31
	s_lshl_b64 s[8:9], s[2:3], 3
	s_waitcnt lgkmcnt(0)
	s_add_u32 s4, s20, s8
	s_addc_u32 s5, s21, s9
	s_load_dwordx2 s[4:5], s[4:5], 0x0
	v_cmp_gt_i32_e64 s[10:11], s14, v0
	v_lshlrev_b32_e32 v2, 3, v0
	s_and_saveexec_b64 s[6:7], s[10:11]
	s_cbranch_execz .LBB10_3
; %bb.1:
	s_load_dwordx4 s[24:27], s[0:1], 0x8
	s_load_dword s13, s[0:1], 0x18
	v_lshlrev_b32_e32 v1, 3, v0
	s_waitcnt lgkmcnt(0)
	s_add_u32 s8, s24, s8
	s_addc_u32 s9, s25, s9
	s_load_dwordx2 s[20:21], s[8:9], 0x0
	s_lshl_b64 s[24:25], s[26:27], 3
	v_mul_lo_u32 v3, v0, s13
	s_mov_b64 s[8:9], 0
	s_waitcnt lgkmcnt(0)
	s_add_u32 s20, s20, s24
	s_addc_u32 s21, s21, s25
	s_sub_i32 s24, 1, s14
	s_mul_i32 s24, s13, s24
	s_cmp_lt_i32 s13, 1
	s_cselect_b32 s24, s24, 0
	s_lshl_b32 s13, s13, 6
	v_add_u32_e32 v4, s24, v3
	v_mov_b32_e32 v3, v0
.LBB10_2:                               ; =>This Inner Loop Header: Depth=1
	v_ashrrev_i32_e32 v5, 31, v4
	v_lshl_add_u64 v[6:7], v[4:5], 3, s[20:21]
	flat_load_dwordx2 v[6:7], v[6:7]
	v_add_u32_e32 v3, 64, v3
	v_cmp_le_i32_e32 vcc, s14, v3
	v_add_u32_e32 v4, s13, v4
	s_or_b64 s[8:9], vcc, s[8:9]
	s_waitcnt vmcnt(0) lgkmcnt(0)
	ds_write_b64 v1, v[6:7]
	v_add_u32_e32 v1, 0x200, v1
	s_andn2_b64 exec, exec, s[8:9]
	s_cbranch_execnz .LBB10_2
.LBB10_3:
	s_or_b64 exec, exec, s[6:7]
	s_cmp_ge_i32 s12, s15
	s_waitcnt lgkmcnt(0)
	; wave barrier
	s_cbranch_scc1 .LBB10_35
; %bb.4:
	s_load_dword s13, s[0:1], 0x48
	s_lshl_b64 s[0:1], s[22:23], 3
	v_xad_u32 v1, v0, -1, s14
	s_add_u32 s0, s4, s0
	s_mul_i32 s3, s18, s3
	s_mul_hi_u32 s4, s18, s2
	v_lshrrev_b32_e32 v3, 6, v1
	s_addc_u32 s1, s5, s1
	s_add_i32 s3, s4, s3
	s_mul_i32 s4, s19, s2
	v_add_u32_e32 v4, 1, v3
	s_add_i32 s3, s3, s4
	s_mul_i32 s2, s18, s2
	v_add_u32_e32 v3, -1, v3
	v_and_b32_e32 v7, 0x7fffffe, v4
	s_lshl_b64 s[2:3], s[2:3], 3
	v_lshrrev_b32_e32 v6, 1, v3
	v_cmp_ne_u32_e64 s[8:9], v4, v7
	v_mov_b32_e32 v4, 0
	s_add_u32 s16, s16, s2
	v_add_u32_e32 v6, 1, v6
	v_cmp_lt_u32_e64 s[4:5], 5, v3
	v_mov_b32_e32 v3, v4
	s_addc_u32 s17, s17, s3
	v_lshrrev_b32_e32 v5, 3, v0
	v_lshl_or_b32 v16, v7, 6, v0
	v_and_b32_e32 v17, 3, v6
	v_and_b32_e32 v18, -4, v6
	v_lshl_add_u64 v[6:7], s[0:1], 0, v[2:3]
	v_mbcnt_lo_u32_b32 v3, -1, 0
	s_cmp_gt_i32 s14, 1
	v_mbcnt_hi_u32_b32 v3, -1, v3
	v_or_b32_e32 v20, 0x4000, v5
	v_mov_b32_e32 v5, 0x80
	s_cselect_b64 s[18:19], -1, 0
	v_cmp_eq_u32_e64 s[20:21], 0, v0
	v_cmp_lt_u32_e64 s[2:3], 63, v1
	v_or_b32_e32 v1, 64, v0
	v_cmp_ne_u32_e64 s[6:7], 0, v17
	s_waitcnt lgkmcnt(0)
	s_mul_i32 s22, s12, s13
	s_lshl_b32 s33, s13, 6
	s_mov_b64 s[24:25], 0x200
	v_and_b32_e32 v19, 63, v3
	v_lshl_or_b32 v21, v3, 2, v5
	v_lshlrev_b32_e32 v22, 3, v16
	s_branch .LBB10_6
.LBB10_5:                               ;   in Loop: Header=BB10_6 Depth=1
	s_or_b64 exec, exec, s[28:29]
	s_add_i32 s12, s12, 64
	s_add_i32 s22, s22, s33
	s_cmp_ge_i32 s12, s15
	s_cbranch_scc1 .LBB10_35
.LBB10_6:                               ; =>This Loop Header: Depth=1
                                        ;     Child Loop BB10_8 Depth 2
                                        ;     Child Loop BB10_24 Depth 2
	;; [unrolled: 1-line block ×4, first 2 shown]
	s_ashr_i32 s23, s22, 31
	v_mov_b32_e32 v5, v4
	s_lshl_b64 s[26:27], s[22:23], 3
	v_mov_b64_e32 v[8:9], v[4:5]
	s_and_saveexec_b64 s[28:29], s[10:11]
	s_cbranch_execz .LBB10_10
; %bb.7:                                ;   in Loop: Header=BB10_6 Depth=1
	v_mov_b32_e32 v8, 0
	v_lshl_add_u64 v[10:11], v[6:7], 0, s[26:27]
	s_mov_b64 s[30:31], 0
	v_mov_b32_e32 v5, v2
	v_mov_b32_e32 v12, v0
	;; [unrolled: 1-line block ×3, first 2 shown]
.LBB10_8:                               ;   Parent Loop BB10_6 Depth=1
                                        ; =>  This Inner Loop Header: Depth=2
	flat_load_dwordx2 v[14:15], v[10:11]
	ds_read_b64 v[24:25], v5
	v_add_u32_e32 v12, 64, v12
	v_cmp_le_i32_e32 vcc, s14, v12
	v_add_u32_e32 v5, 0x200, v5
	v_lshl_add_u64 v[10:11], v[10:11], 0, s[24:25]
	s_waitcnt lgkmcnt(0)
	v_mov_b32_e32 v26, v25
	s_or_b64 s[30:31], vcc, s[30:31]
	s_waitcnt vmcnt(0)
	v_pk_mul_f32 v[28:29], v[14:15], v[24:25] op_sel_hi:[1,0]
	s_nop 0
	v_pk_fma_f32 v[26:27], v[14:15], v[26:27], v[28:29] op_sel:[1,0,0] op_sel_hi:[0,1,1]
	v_pk_fma_f32 v[14:15], v[14:15], v[24:25], v[28:29] op_sel:[1,1,0] op_sel_hi:[0,1,1] neg_lo:[0,0,1] neg_hi:[0,0,1]
	v_mov_b32_e32 v27, v15
	v_pk_add_f32 v[8:9], v[8:9], v[26:27]
	s_andn2_b64 exec, exec, s[30:31]
	s_cbranch_execnz .LBB10_8
; %bb.9:                                ;   in Loop: Header=BB10_6 Depth=1
	s_or_b64 exec, exec, s[30:31]
.LBB10_10:                              ;   in Loop: Header=BB10_6 Depth=1
	s_or_b64 exec, exec, s[28:29]
	s_and_b64 vcc, exec, s[18:19]
	s_cbranch_vccz .LBB10_15
; %bb.11:                               ;   in Loop: Header=BB10_6 Depth=1
	v_cmp_ne_u32_e32 vcc, 63, v19
	s_nop 1
	v_addc_co_u32_e32 v5, vcc, 0, v3, vcc
	v_lshlrev_b32_e32 v5, 2, v5
	ds_bpermute_b32 v10, v5, v8
	ds_bpermute_b32 v11, v5, v9
	v_cmp_gt_u32_e32 vcc, 62, v19
	s_waitcnt lgkmcnt(0)
	v_pk_add_f32 v[10:11], v[8:9], v[10:11]
	v_cndmask_b32_e64 v5, 0, 2, vcc
	v_add_lshl_u32 v5, v5, v3, 2
	ds_bpermute_b32 v12, v5, v10
	ds_bpermute_b32 v13, v5, v11
	v_cmp_gt_u32_e32 vcc, 60, v19
	s_waitcnt lgkmcnt(0)
	v_pk_add_f32 v[10:11], v[10:11], v[12:13]
	v_cndmask_b32_e64 v5, 0, 4, vcc
	v_add_lshl_u32 v5, v5, v3, 2
	;; [unrolled: 7-line block ×4, first 2 shown]
	ds_bpermute_b32 v12, v5, v10
	ds_bpermute_b32 v13, v5, v11
	s_waitcnt lgkmcnt(0)
	v_pk_add_f32 v[10:11], v[10:11], v[12:13]
	ds_bpermute_b32 v12, v21, v10
	ds_bpermute_b32 v13, v21, v11
	s_waitcnt lgkmcnt(0)
	v_pk_add_f32 v[10:11], v[10:11], v[12:13]
	s_and_saveexec_b64 s[28:29], s[20:21]
; %bb.12:                               ;   in Loop: Header=BB10_6 Depth=1
	ds_write2_b32 v20, v10, v11 offset1:1
; %bb.13:                               ;   in Loop: Header=BB10_6 Depth=1
	s_or_b64 exec, exec, s[28:29]
	s_waitcnt lgkmcnt(0)
	; wave barrier
	s_mov_b64 s[28:29], s[20:21]
.LBB10_14:                              ;   in Loop: Header=BB10_6 Depth=1
	v_mov_b64_e32 v[8:9], v[10:11]
	s_and_saveexec_b64 s[30:31], s[28:29]
	s_cbranch_execnz .LBB10_17
	s_branch .LBB10_18
.LBB10_15:                              ;   in Loop: Header=BB10_6 Depth=1
	s_mov_b64 s[28:29], 0
                                        ; implicit-def: $vgpr10_vgpr11
	s_cbranch_execz .LBB10_14
; %bb.16:                               ;   in Loop: Header=BB10_6 Depth=1
	s_andn2_b64 s[28:29], s[28:29], exec
	s_and_b64 s[30:31], s[20:21], exec
	s_or_b64 s[28:29], s[28:29], s[30:31]
	s_and_saveexec_b64 s[30:31], s[28:29]
.LBB10_17:                              ;   in Loop: Header=BB10_6 Depth=1
	ds_write_b64 v4, v[8:9] offset:16384
.LBB10_18:                              ;   in Loop: Header=BB10_6 Depth=1
	s_or_b64 exec, exec, s[30:31]
	s_waitcnt lgkmcnt(0)
	; wave barrier
	s_and_saveexec_b64 s[28:29], s[10:11]
	s_cbranch_execz .LBB10_5
; %bb.19:                               ;   in Loop: Header=BB10_6 Depth=1
	global_load_dwordx2 v[10:11], v4, s[16:17]
	ds_read_b64 v[8:9], v4 offset:16384
	s_mov_b64 s[34:35], 0
	s_waitcnt vmcnt(0) lgkmcnt(0)
	v_mul_f32_e32 v5, v11, v9
	v_mul_f32_e32 v11, v11, v8
	v_fma_f32 v8, v8, -v10, -v5
	v_fma_f32 v10, v10, v9, -v11
                                        ; implicit-def: $vgpr5
	s_and_saveexec_b64 s[30:31], s[2:3]
	s_xor_b64 s[30:31], exec, s[30:31]
	s_cbranch_execnz .LBB10_22
; %bb.20:                               ;   in Loop: Header=BB10_6 Depth=1
	s_or_saveexec_b64 s[30:31], s[30:31]
	v_mov_b32_e32 v12, v16
	s_xor_b64 exec, exec, s[30:31]
	s_cbranch_execnz .LBB10_32
.LBB10_21:                              ;   in Loop: Header=BB10_6 Depth=1
	s_or_b64 exec, exec, s[30:31]
	s_and_b64 exec, exec, s[34:35]
	s_cbranch_execz .LBB10_5
	s_branch .LBB10_33
.LBB10_22:                              ;   in Loop: Header=BB10_6 Depth=1
	s_mul_i32 s23, s12, s13
	v_mov_b32_e32 v9, v8
	v_mov_b32_e32 v11, v10
	;; [unrolled: 1-line block ×3, first 2 shown]
	v_mov_b64_e32 v[12:13], v[0:1]
	s_and_saveexec_b64 s[34:35], s[4:5]
	s_cbranch_execz .LBB10_26
; %bb.23:                               ;   in Loop: Header=BB10_6 Depth=1
	s_add_i32 s38, s23, 0x80
	s_add_i32 s40, s23, 0x100
	;; [unrolled: 1-line block ×3, first 2 shown]
	s_mov_b32 s39, s38
	s_mov_b32 s41, s40
	;; [unrolled: 1-line block ×4, first 2 shown]
	s_mov_b64 s[36:37], 0
	v_mov_b32_e32 v5, v18
	v_mov_b32_e32 v14, v2
	v_mov_b64_e32 v[12:13], v[0:1]
.LBB10_24:                              ;   Parent Loop BB10_6 Depth=1
                                        ; =>  This Inner Loop Header: Depth=2
	v_add_u32_e32 v24, s23, v12
	v_add_u32_e32 v26, s23, v13
	v_ashrrev_i32_e32 v25, 31, v24
	v_ashrrev_i32_e32 v27, 31, v26
	v_lshl_add_u64 v[28:29], v[24:25], 3, s[0:1]
	v_lshl_add_u64 v[30:31], v[26:27], 3, s[0:1]
	flat_load_dwordx2 v[40:41], v[28:29]
	flat_load_dwordx2 v[32:33], v[30:31]
	ds_read2st64_b64 v[24:27], v14 offset1:1
	v_add_u32_e32 v34, s38, v12
	v_add_u32_e32 v36, s39, v13
	v_ashrrev_i32_e32 v35, 31, v34
	v_ashrrev_i32_e32 v37, 31, v36
	s_waitcnt lgkmcnt(0)
	v_mov_b32_e32 v39, v26
	v_mov_b32_e32 v26, v25
	;; [unrolled: 1-line block ×3, first 2 shown]
	v_pk_mul_f32 v[24:25], v[10:11], v[26:27]
	v_pk_mul_f32 v[26:27], v[8:9], v[26:27]
	v_pk_fma_f32 v[24:25], v[8:9], v[38:39], v[24:25] neg_lo:[0,0,1] neg_hi:[0,0,1]
	v_pk_fma_f32 v[26:27], v[10:11], v[38:39], v[26:27]
	v_lshl_add_u64 v[34:35], v[34:35], 3, s[0:1]
	v_lshl_add_u64 v[36:37], v[36:37], 3, s[0:1]
	v_add_u32_e32 v5, -4, v5
	s_add_i32 s44, s44, 8
	v_cmp_eq_u32_e32 vcc, 0, v5
	v_mov_b32_e32 v15, s44
	s_or_b64 s[36:37], vcc, s[36:37]
	s_waitcnt vmcnt(0)
	v_mov_b32_e32 v38, v40
	v_mov_b32_e32 v39, v32
	;; [unrolled: 1-line block ×3, first 2 shown]
	v_pk_add_f32 v[24:25], v[38:39], v[24:25]
	v_pk_add_f32 v[26:27], v[26:27], v[32:33]
	v_mov_b32_e32 v32, v24
	v_mov_b32_e32 v33, v26
	;; [unrolled: 1-line block ×3, first 2 shown]
	flat_store_dwordx2 v[28:29], v[32:33]
	flat_store_dwordx2 v[30:31], v[26:27]
	flat_load_dwordx2 v[40:41], v[34:35]
	s_nop 0
	flat_load_dwordx2 v[28:29], v[36:37]
	v_add_u32_e32 v24, s40, v12
	v_add_u32_e32 v26, s41, v13
	v_ashrrev_i32_e32 v27, 31, v26
	v_ashrrev_i32_e32 v25, 31, v24
	v_lshl_add_u64 v[30:31], v[24:25], 3, s[0:1]
	v_lshl_add_u64 v[32:33], v[26:27], 3, s[0:1]
	ds_read2st64_b64 v[24:27], v14 offset0:2 offset1:3
	s_waitcnt lgkmcnt(0)
	v_mov_b32_e32 v39, v26
	v_mov_b32_e32 v26, v25
	;; [unrolled: 1-line block ×3, first 2 shown]
	v_pk_mul_f32 v[24:25], v[10:11], v[26:27]
	v_pk_mul_f32 v[26:27], v[8:9], v[26:27]
	v_pk_fma_f32 v[24:25], v[8:9], v[38:39], v[24:25] neg_lo:[0,0,1] neg_hi:[0,0,1]
	v_pk_fma_f32 v[26:27], v[10:11], v[38:39], v[26:27]
	s_waitcnt vmcnt(0)
	v_mov_b32_e32 v38, v40
	v_mov_b32_e32 v39, v28
	;; [unrolled: 1-line block ×3, first 2 shown]
	v_pk_add_f32 v[24:25], v[38:39], v[24:25]
	v_pk_add_f32 v[26:27], v[26:27], v[28:29]
	v_mov_b32_e32 v28, v24
	v_mov_b32_e32 v29, v26
	;; [unrolled: 1-line block ×3, first 2 shown]
	flat_store_dwordx2 v[34:35], v[28:29]
	flat_store_dwordx2 v[36:37], v[26:27]
	flat_load_dwordx2 v[40:41], v[30:31]
	s_nop 0
	flat_load_dwordx2 v[28:29], v[32:33]
	v_add_u32_e32 v24, s42, v12
	v_add_u32_e32 v26, s43, v13
	v_ashrrev_i32_e32 v27, 31, v26
	v_ashrrev_i32_e32 v25, 31, v24
	v_lshl_add_u64 v[34:35], v[24:25], 3, s[0:1]
	v_lshl_add_u64 v[36:37], v[26:27], 3, s[0:1]
	ds_read2st64_b64 v[24:27], v14 offset0:4 offset1:5
	v_add_u32_e32 v13, 0x200, v13
	v_add_u32_e32 v12, 0x200, v12
	s_waitcnt lgkmcnt(0)
	v_mov_b32_e32 v39, v26
	v_mov_b32_e32 v26, v25
	;; [unrolled: 1-line block ×3, first 2 shown]
	v_pk_mul_f32 v[24:25], v[10:11], v[26:27]
	v_pk_mul_f32 v[26:27], v[8:9], v[26:27]
	v_pk_fma_f32 v[24:25], v[8:9], v[38:39], v[24:25] neg_lo:[0,0,1] neg_hi:[0,0,1]
	v_pk_fma_f32 v[26:27], v[10:11], v[38:39], v[26:27]
	s_waitcnt vmcnt(0)
	v_mov_b32_e32 v38, v40
	v_mov_b32_e32 v39, v28
	;; [unrolled: 1-line block ×3, first 2 shown]
	v_pk_add_f32 v[24:25], v[38:39], v[24:25]
	v_pk_add_f32 v[26:27], v[26:27], v[28:29]
	v_mov_b32_e32 v28, v24
	v_mov_b32_e32 v29, v26
	;; [unrolled: 1-line block ×3, first 2 shown]
	flat_store_dwordx2 v[30:31], v[28:29]
	flat_store_dwordx2 v[32:33], v[26:27]
	flat_load_dwordx2 v[32:33], v[34:35]
	s_nop 0
	flat_load_dwordx2 v[28:29], v[36:37]
	ds_read2st64_b64 v[24:27], v14 offset0:6 offset1:7
	v_add_u32_e32 v14, 0x1000, v14
	s_waitcnt lgkmcnt(0)
	v_mov_b32_e32 v31, v26
	v_mov_b32_e32 v26, v25
	;; [unrolled: 1-line block ×3, first 2 shown]
	v_pk_mul_f32 v[24:25], v[10:11], v[26:27]
	v_pk_mul_f32 v[26:27], v[8:9], v[26:27]
	v_pk_fma_f32 v[24:25], v[8:9], v[30:31], v[24:25] neg_lo:[0,0,1] neg_hi:[0,0,1]
	v_pk_fma_f32 v[26:27], v[10:11], v[30:31], v[26:27]
	s_waitcnt vmcnt(0)
	v_mov_b32_e32 v30, v32
	v_mov_b32_e32 v31, v28
	;; [unrolled: 1-line block ×3, first 2 shown]
	v_pk_add_f32 v[24:25], v[30:31], v[24:25]
	v_pk_add_f32 v[26:27], v[26:27], v[28:29]
	v_mov_b32_e32 v28, v24
	v_mov_b32_e32 v29, v26
	;; [unrolled: 1-line block ×3, first 2 shown]
	flat_store_dwordx2 v[34:35], v[28:29]
	flat_store_dwordx2 v[36:37], v[26:27]
	s_andn2_b64 exec, exec, s[36:37]
	s_cbranch_execnz .LBB10_24
; %bb.25:                               ;   in Loop: Header=BB10_6 Depth=1
	s_or_b64 exec, exec, s[36:37]
.LBB10_26:                              ;   in Loop: Header=BB10_6 Depth=1
	s_or_b64 exec, exec, s[34:35]
	s_and_saveexec_b64 s[34:35], s[6:7]
	s_cbranch_execz .LBB10_29
; %bb.27:                               ;   in Loop: Header=BB10_6 Depth=1
	v_lshl_or_b32 v5, v15, 9, v2
	s_mov_b64 s[36:37], 0
	v_mov_b32_e32 v14, v17
.LBB10_28:                              ;   Parent Loop BB10_6 Depth=1
                                        ; =>  This Inner Loop Header: Depth=2
	v_add_u32_e32 v24, s23, v12
	v_add_u32_e32 v26, s23, v13
	v_ashrrev_i32_e32 v25, 31, v24
	v_ashrrev_i32_e32 v27, 31, v26
	v_lshl_add_u64 v[28:29], v[24:25], 3, s[0:1]
	v_lshl_add_u64 v[30:31], v[26:27], 3, s[0:1]
	flat_load_dwordx2 v[36:37], v[28:29]
	flat_load_dwordx2 v[32:33], v[30:31]
	ds_read2st64_b64 v[24:27], v5 offset1:1
	v_add_u32_e32 v14, -1, v14
	v_cmp_eq_u32_e32 vcc, 0, v14
	v_add_u32_e32 v13, 0x80, v13
	v_add_u32_e32 v12, 0x80, v12
	s_waitcnt lgkmcnt(0)
	v_mov_b32_e32 v35, v26
	v_mov_b32_e32 v26, v25
	;; [unrolled: 1-line block ×3, first 2 shown]
	v_pk_mul_f32 v[24:25], v[10:11], v[26:27]
	v_pk_mul_f32 v[26:27], v[8:9], v[26:27]
	v_pk_fma_f32 v[24:25], v[8:9], v[34:35], v[24:25] neg_lo:[0,0,1] neg_hi:[0,0,1]
	v_pk_fma_f32 v[26:27], v[10:11], v[34:35], v[26:27]
	v_add_u32_e32 v5, 0x400, v5
	s_or_b64 s[36:37], vcc, s[36:37]
	s_waitcnt vmcnt(0)
	v_mov_b32_e32 v34, v36
	v_mov_b32_e32 v35, v32
	;; [unrolled: 1-line block ×3, first 2 shown]
	v_pk_add_f32 v[24:25], v[34:35], v[24:25]
	v_pk_add_f32 v[26:27], v[26:27], v[32:33]
	v_mov_b32_e32 v32, v24
	v_mov_b32_e32 v33, v26
	;; [unrolled: 1-line block ×3, first 2 shown]
	flat_store_dwordx2 v[28:29], v[32:33]
	flat_store_dwordx2 v[30:31], v[26:27]
	s_andn2_b64 exec, exec, s[36:37]
	s_cbranch_execnz .LBB10_28
.LBB10_29:                              ;   in Loop: Header=BB10_6 Depth=1
	s_or_b64 exec, exec, s[34:35]
	s_mov_b64 s[34:35], 0
	s_and_saveexec_b64 s[36:37], s[8:9]
	s_xor_b64 s[36:37], exec, s[36:37]
; %bb.30:                               ;   in Loop: Header=BB10_6 Depth=1
	s_mov_b64 s[34:35], exec
; %bb.31:                               ;   in Loop: Header=BB10_6 Depth=1
	s_or_b64 exec, exec, s[36:37]
	s_and_b64 s[34:35], s[34:35], exec
	v_mov_b32_e32 v5, v22
	s_or_saveexec_b64 s[30:31], s[30:31]
	v_mov_b32_e32 v12, v16
	s_xor_b64 exec, exec, s[30:31]
	s_cbranch_execz .LBB10_21
.LBB10_32:                              ;   in Loop: Header=BB10_6 Depth=1
	s_or_b64 s[34:35], s[34:35], exec
	v_mov_b32_e32 v12, v0
	v_mov_b32_e32 v5, v2
	s_or_b64 exec, exec, s[30:31]
	s_and_b64 exec, exec, s[34:35]
	s_cbranch_execz .LBB10_5
.LBB10_33:                              ;   in Loop: Header=BB10_6 Depth=1
	s_add_u32 s26, s0, s26
	v_ashrrev_i32_e32 v13, 31, v12
	s_addc_u32 s27, s1, s27
	v_mov_b32_e32 v11, v10
	v_mov_b32_e32 v9, v8
	v_lshl_add_u64 v[14:15], v[12:13], 3, s[26:27]
	s_mov_b64 s[26:27], 0
.LBB10_34:                              ;   Parent Loop BB10_6 Depth=1
                                        ; =>  This Inner Loop Header: Depth=2
	flat_load_dwordx2 v[24:25], v[14:15]
	ds_read_b64 v[26:27], v5
	v_add_u32_e32 v12, 64, v12
	v_cmp_le_i32_e32 vcc, s14, v12
	s_or_b64 s[26:27], vcc, s[26:27]
	v_add_u32_e32 v5, 0x200, v5
	s_waitcnt lgkmcnt(0)
	v_pk_mul_f32 v[28:29], v[10:11], v[26:27] op_sel:[0,1] op_sel_hi:[1,0]
	s_nop 0
	v_pk_fma_f32 v[30:31], v[8:9], v[26:27], v[28:29] neg_lo:[0,0,1] neg_hi:[0,0,1]
	v_pk_fma_f32 v[26:27], v[8:9], v[26:27], v[28:29]
	s_nop 0
	v_mov_b32_e32 v31, v27
	s_waitcnt vmcnt(0)
	v_pk_add_f32 v[24:25], v[24:25], v[30:31]
	flat_store_dwordx2 v[14:15], v[24:25]
	v_lshl_add_u64 v[14:15], v[14:15], 0, s[24:25]
	s_andn2_b64 exec, exec, s[26:27]
	s_cbranch_execnz .LBB10_34
	s_branch .LBB10_5
.LBB10_35:
	s_endpgm
	.section	.rodata,"a",@progbits
	.p2align	6, 0x0
	.amdhsa_kernel _ZN9rocsolver6v33100L22larf_left_kernel_smallILi64E19rocblas_complex_numIfEiPKPS3_EEvT1_S7_T2_lS7_lPKT0_lS8_lS7_l
		.amdhsa_group_segment_fixed_size 16896
		.amdhsa_private_segment_fixed_size 0
		.amdhsa_kernarg_size 88
		.amdhsa_user_sgpr_count 2
		.amdhsa_user_sgpr_dispatch_ptr 0
		.amdhsa_user_sgpr_queue_ptr 0
		.amdhsa_user_sgpr_kernarg_segment_ptr 1
		.amdhsa_user_sgpr_dispatch_id 0
		.amdhsa_user_sgpr_kernarg_preload_length 0
		.amdhsa_user_sgpr_kernarg_preload_offset 0
		.amdhsa_user_sgpr_private_segment_size 0
		.amdhsa_uses_dynamic_stack 0
		.amdhsa_enable_private_segment 0
		.amdhsa_system_sgpr_workgroup_id_x 1
		.amdhsa_system_sgpr_workgroup_id_y 1
		.amdhsa_system_sgpr_workgroup_id_z 0
		.amdhsa_system_sgpr_workgroup_info 0
		.amdhsa_system_vgpr_workitem_id 0
		.amdhsa_next_free_vgpr 129
		.amdhsa_next_free_sgpr 96
		.amdhsa_accum_offset 44
		.amdhsa_reserve_vcc 1
		.amdhsa_float_round_mode_32 0
		.amdhsa_float_round_mode_16_64 0
		.amdhsa_float_denorm_mode_32 3
		.amdhsa_float_denorm_mode_16_64 3
		.amdhsa_dx10_clamp 1
		.amdhsa_ieee_mode 1
		.amdhsa_fp16_overflow 0
		.amdhsa_tg_split 0
		.amdhsa_exception_fp_ieee_invalid_op 0
		.amdhsa_exception_fp_denorm_src 0
		.amdhsa_exception_fp_ieee_div_zero 0
		.amdhsa_exception_fp_ieee_overflow 0
		.amdhsa_exception_fp_ieee_underflow 0
		.amdhsa_exception_fp_ieee_inexact 0
		.amdhsa_exception_int_div_zero 0
	.end_amdhsa_kernel
	.section	.text._ZN9rocsolver6v33100L22larf_left_kernel_smallILi64E19rocblas_complex_numIfEiPKPS3_EEvT1_S7_T2_lS7_lPKT0_lS8_lS7_l,"axG",@progbits,_ZN9rocsolver6v33100L22larf_left_kernel_smallILi64E19rocblas_complex_numIfEiPKPS3_EEvT1_S7_T2_lS7_lPKT0_lS8_lS7_l,comdat
.Lfunc_end10:
	.size	_ZN9rocsolver6v33100L22larf_left_kernel_smallILi64E19rocblas_complex_numIfEiPKPS3_EEvT1_S7_T2_lS7_lPKT0_lS8_lS7_l, .Lfunc_end10-_ZN9rocsolver6v33100L22larf_left_kernel_smallILi64E19rocblas_complex_numIfEiPKPS3_EEvT1_S7_T2_lS7_lPKT0_lS8_lS7_l
                                        ; -- End function
	.set _ZN9rocsolver6v33100L22larf_left_kernel_smallILi64E19rocblas_complex_numIfEiPKPS3_EEvT1_S7_T2_lS7_lPKT0_lS8_lS7_l.num_vgpr, 42
	.set _ZN9rocsolver6v33100L22larf_left_kernel_smallILi64E19rocblas_complex_numIfEiPKPS3_EEvT1_S7_T2_lS7_lPKT0_lS8_lS7_l.num_agpr, 0
	.set _ZN9rocsolver6v33100L22larf_left_kernel_smallILi64E19rocblas_complex_numIfEiPKPS3_EEvT1_S7_T2_lS7_lPKT0_lS8_lS7_l.numbered_sgpr, 45
	.set _ZN9rocsolver6v33100L22larf_left_kernel_smallILi64E19rocblas_complex_numIfEiPKPS3_EEvT1_S7_T2_lS7_lPKT0_lS8_lS7_l.num_named_barrier, 0
	.set _ZN9rocsolver6v33100L22larf_left_kernel_smallILi64E19rocblas_complex_numIfEiPKPS3_EEvT1_S7_T2_lS7_lPKT0_lS8_lS7_l.private_seg_size, 0
	.set _ZN9rocsolver6v33100L22larf_left_kernel_smallILi64E19rocblas_complex_numIfEiPKPS3_EEvT1_S7_T2_lS7_lPKT0_lS8_lS7_l.uses_vcc, 1
	.set _ZN9rocsolver6v33100L22larf_left_kernel_smallILi64E19rocblas_complex_numIfEiPKPS3_EEvT1_S7_T2_lS7_lPKT0_lS8_lS7_l.uses_flat_scratch, 0
	.set _ZN9rocsolver6v33100L22larf_left_kernel_smallILi64E19rocblas_complex_numIfEiPKPS3_EEvT1_S7_T2_lS7_lPKT0_lS8_lS7_l.has_dyn_sized_stack, 0
	.set _ZN9rocsolver6v33100L22larf_left_kernel_smallILi64E19rocblas_complex_numIfEiPKPS3_EEvT1_S7_T2_lS7_lPKT0_lS8_lS7_l.has_recursion, 0
	.set _ZN9rocsolver6v33100L22larf_left_kernel_smallILi64E19rocblas_complex_numIfEiPKPS3_EEvT1_S7_T2_lS7_lPKT0_lS8_lS7_l.has_indirect_call, 0
	.section	.AMDGPU.csdata,"",@progbits
; Kernel info:
; codeLenInByte = 2400
; TotalNumSgprs: 51
; NumVgprs: 42
; NumAgprs: 0
; TotalNumVgprs: 42
; ScratchSize: 0
; MemoryBound: 0
; FloatMode: 240
; IeeeMode: 1
; LDSByteSize: 16896 bytes/workgroup (compile time only)
; SGPRBlocks: 12
; VGPRBlocks: 16
; NumSGPRsForWavesPerEU: 102
; NumVGPRsForWavesPerEU: 129
; AccumOffset: 44
; Occupancy: 3
; WaveLimiterHint : 1
; COMPUTE_PGM_RSRC2:SCRATCH_EN: 0
; COMPUTE_PGM_RSRC2:USER_SGPR: 2
; COMPUTE_PGM_RSRC2:TRAP_HANDLER: 0
; COMPUTE_PGM_RSRC2:TGID_X_EN: 1
; COMPUTE_PGM_RSRC2:TGID_Y_EN: 1
; COMPUTE_PGM_RSRC2:TGID_Z_EN: 0
; COMPUTE_PGM_RSRC2:TIDIG_COMP_CNT: 0
; COMPUTE_PGM_RSRC3_GFX90A:ACCUM_OFFSET: 10
; COMPUTE_PGM_RSRC3_GFX90A:TG_SPLIT: 0
	.section	.text._ZN9rocsolver6v33100L22larf_left_kernel_smallILi128E19rocblas_complex_numIfEiPKPS3_EEvT1_S7_T2_lS7_lPKT0_lS8_lS7_l,"axG",@progbits,_ZN9rocsolver6v33100L22larf_left_kernel_smallILi128E19rocblas_complex_numIfEiPKPS3_EEvT1_S7_T2_lS7_lPKT0_lS8_lS7_l,comdat
	.globl	_ZN9rocsolver6v33100L22larf_left_kernel_smallILi128E19rocblas_complex_numIfEiPKPS3_EEvT1_S7_T2_lS7_lPKT0_lS8_lS7_l ; -- Begin function _ZN9rocsolver6v33100L22larf_left_kernel_smallILi128E19rocblas_complex_numIfEiPKPS3_EEvT1_S7_T2_lS7_lPKT0_lS8_lS7_l
	.p2align	8
	.type	_ZN9rocsolver6v33100L22larf_left_kernel_smallILi128E19rocblas_complex_numIfEiPKPS3_EEvT1_S7_T2_lS7_lPKT0_lS8_lS7_l,@function
_ZN9rocsolver6v33100L22larf_left_kernel_smallILi128E19rocblas_complex_numIfEiPKPS3_EEvT1_S7_T2_lS7_lPKT0_lS8_lS7_l: ; @_ZN9rocsolver6v33100L22larf_left_kernel_smallILi128E19rocblas_complex_numIfEiPKPS3_EEvT1_S7_T2_lS7_lPKT0_lS8_lS7_l
; %bb.0:
	s_load_dwordx8 s[4:11], s[0:1], 0x28
	s_load_dwordx2 s[18:19], s[0:1], 0x0
	s_mov_b32 s16, s3
	s_ashr_i32 s3, s2, 31
	s_lshl_b64 s[20:21], s[2:3], 3
	s_waitcnt lgkmcnt(0)
	s_add_u32 s8, s8, s20
	s_addc_u32 s9, s9, s21
	s_load_dwordx2 s[8:9], s[8:9], 0x0
	v_cmp_gt_i32_e64 s[14:15], s18, v0
	v_lshlrev_b32_e32 v2, 3, v0
	s_and_saveexec_b64 s[12:13], s[14:15]
	s_cbranch_execz .LBB11_3
; %bb.1:
	s_load_dwordx4 s[24:27], s[0:1], 0x8
	s_load_dword s17, s[0:1], 0x18
	v_lshlrev_b32_e32 v1, 3, v0
	s_waitcnt lgkmcnt(0)
	s_add_u32 s20, s24, s20
	s_addc_u32 s21, s25, s21
	s_load_dwordx2 s[22:23], s[20:21], 0x0
	s_lshl_b64 s[24:25], s[26:27], 3
	v_mul_lo_u32 v3, v0, s17
	s_mov_b64 s[20:21], 0
	s_waitcnt lgkmcnt(0)
	s_add_u32 s22, s22, s24
	s_addc_u32 s23, s23, s25
	s_sub_i32 s24, 1, s18
	s_mul_i32 s24, s17, s24
	s_cmp_lt_i32 s17, 1
	s_cselect_b32 s24, s24, 0
	s_lshl_b32 s17, s17, 7
	v_add_u32_e32 v4, s24, v3
	v_mov_b32_e32 v3, v0
.LBB11_2:                               ; =>This Inner Loop Header: Depth=1
	v_ashrrev_i32_e32 v5, 31, v4
	v_lshl_add_u64 v[6:7], v[4:5], 3, s[22:23]
	flat_load_dwordx2 v[6:7], v[6:7]
	v_add_u32_e32 v3, 0x80, v3
	v_cmp_le_i32_e32 vcc, s18, v3
	v_add_u32_e32 v4, s17, v4
	s_or_b64 s[20:21], vcc, s[20:21]
	s_waitcnt vmcnt(0) lgkmcnt(0)
	ds_write_b64 v1, v[6:7]
	v_add_u32_e32 v1, 0x400, v1
	s_andn2_b64 exec, exec, s[20:21]
	s_cbranch_execnz .LBB11_2
.LBB11_3:
	s_or_b64 exec, exec, s[12:13]
	s_cmp_ge_i32 s16, s19
	s_waitcnt lgkmcnt(0)
	s_barrier
	s_cbranch_scc1 .LBB11_37
; %bb.4:
	s_load_dword s17, s[0:1], 0x48
	s_lshl_b64 s[0:1], s[10:11], 3
	s_add_u32 s0, s8, s0
	s_mul_i32 s3, s6, s3
	s_mul_hi_u32 s8, s6, s2
	s_addc_u32 s1, s9, s1
	s_add_i32 s3, s8, s3
	s_mul_i32 s7, s7, s2
	s_add_i32 s3, s3, s7
	s_mul_i32 s2, s6, s2
	s_lshl_b64 s[2:3], s[2:3], 3
	s_add_u32 s20, s4, s2
	v_and_b32_e32 v1, 63, v0
	s_addc_u32 s21, s5, s3
	v_cmp_eq_u32_e64 s[2:3], 0, v1
	v_xad_u32 v1, v0, -1, s18
	v_lshrrev_b32_e32 v3, 7, v1
	v_add_u32_e32 v4, 1, v3
	v_add_u32_e32 v3, -1, v3
	v_and_b32_e32 v7, 0x3fffffe, v4
	v_lshrrev_b32_e32 v6, 1, v3
	v_cmp_ne_u32_e64 s[12:13], v4, v7
	v_mov_b32_e32 v4, 0
	v_add_u32_e32 v6, 1, v6
	v_cmp_lt_u32_e64 s[8:9], 5, v3
	v_mov_b32_e32 v3, v4
	v_lshrrev_b32_e32 v5, 3, v0
	v_lshl_or_b32 v16, v7, 7, v0
	v_and_b32_e32 v17, 3, v6
	v_and_b32_e32 v18, -4, v6
	v_lshl_add_u64 v[6:7], s[0:1], 0, v[2:3]
	v_mbcnt_lo_u32_b32 v3, -1, 0
	s_cmp_gt_i32 s18, 1
	s_movk_i32 s6, 0x7f
	v_mbcnt_hi_u32_b32 v3, -1, v3
	v_or_b32_e32 v20, 0x4000, v5
	v_mov_b32_e32 v5, 0x80
	s_cselect_b64 s[22:23], -1, 0
	v_cmp_eq_u32_e64 s[4:5], 0, v0
	v_cmp_lt_u32_e64 s[6:7], s6, v1
	v_or_b32_e32 v1, 0x80, v0
	v_cmp_ne_u32_e64 s[10:11], 0, v17
	s_waitcnt lgkmcnt(0)
	s_mul_i32 s24, s16, s17
	s_lshl_b32 s33, s17, 6
	s_mov_b64 s[26:27], 0x400
	v_and_b32_e32 v19, 63, v3
	v_lshl_or_b32 v21, v3, 2, v5
	v_lshlrev_b32_e32 v22, 3, v16
	s_branch .LBB11_6
.LBB11_5:                               ;   in Loop: Header=BB11_6 Depth=1
	s_or_b64 exec, exec, s[30:31]
	s_add_i32 s16, s16, 64
	s_add_i32 s24, s24, s33
	s_cmp_ge_i32 s16, s19
	s_cbranch_scc1 .LBB11_37
.LBB11_6:                               ; =>This Loop Header: Depth=1
                                        ;     Child Loop BB11_8 Depth 2
                                        ;     Child Loop BB11_26 Depth 2
	;; [unrolled: 1-line block ×4, first 2 shown]
	s_ashr_i32 s25, s24, 31
	v_mov_b32_e32 v5, v4
	s_lshl_b64 s[28:29], s[24:25], 3
	v_mov_b64_e32 v[8:9], v[4:5]
	s_and_saveexec_b64 s[30:31], s[14:15]
	s_cbranch_execz .LBB11_10
; %bb.7:                                ;   in Loop: Header=BB11_6 Depth=1
	v_mov_b32_e32 v8, 0
	v_lshl_add_u64 v[10:11], v[6:7], 0, s[28:29]
	s_mov_b64 s[34:35], 0
	v_mov_b32_e32 v5, v2
	v_mov_b32_e32 v12, v0
	;; [unrolled: 1-line block ×3, first 2 shown]
.LBB11_8:                               ;   Parent Loop BB11_6 Depth=1
                                        ; =>  This Inner Loop Header: Depth=2
	flat_load_dwordx2 v[14:15], v[10:11]
	ds_read_b64 v[24:25], v5
	v_add_u32_e32 v12, 0x80, v12
	v_cmp_le_i32_e32 vcc, s18, v12
	v_add_u32_e32 v5, 0x400, v5
	v_lshl_add_u64 v[10:11], v[10:11], 0, s[26:27]
	s_or_b64 s[34:35], vcc, s[34:35]
	s_waitcnt vmcnt(0) lgkmcnt(0)
	v_mul_f32_e32 v26, v15, v25
	v_mul_f32_e32 v13, v15, v24
	v_fmac_f32_e32 v26, v14, v24
	v_fma_f32 v27, v14, v25, -v13
	v_pk_add_f32 v[8:9], v[8:9], v[26:27]
	s_andn2_b64 exec, exec, s[34:35]
	s_cbranch_execnz .LBB11_8
; %bb.9:                                ;   in Loop: Header=BB11_6 Depth=1
	s_or_b64 exec, exec, s[34:35]
.LBB11_10:                              ;   in Loop: Header=BB11_6 Depth=1
	s_or_b64 exec, exec, s[30:31]
	s_and_b64 vcc, exec, s[22:23]
	s_cbranch_vccz .LBB11_17
; %bb.11:                               ;   in Loop: Header=BB11_6 Depth=1
	v_cmp_ne_u32_e32 vcc, 63, v19
	s_nop 1
	v_addc_co_u32_e32 v5, vcc, 0, v3, vcc
	v_lshlrev_b32_e32 v5, 2, v5
	ds_bpermute_b32 v10, v5, v8
	ds_bpermute_b32 v11, v5, v9
	v_cmp_gt_u32_e32 vcc, 62, v19
	s_waitcnt lgkmcnt(0)
	v_pk_add_f32 v[10:11], v[8:9], v[10:11]
	v_cndmask_b32_e64 v5, 0, 2, vcc
	v_add_lshl_u32 v5, v5, v3, 2
	ds_bpermute_b32 v12, v5, v10
	ds_bpermute_b32 v13, v5, v11
	v_cmp_gt_u32_e32 vcc, 60, v19
	s_waitcnt lgkmcnt(0)
	v_pk_add_f32 v[10:11], v[10:11], v[12:13]
	v_cndmask_b32_e64 v5, 0, 4, vcc
	v_add_lshl_u32 v5, v5, v3, 2
	;; [unrolled: 7-line block ×4, first 2 shown]
	ds_bpermute_b32 v12, v5, v10
	ds_bpermute_b32 v13, v5, v11
	s_waitcnt lgkmcnt(0)
	v_pk_add_f32 v[10:11], v[10:11], v[12:13]
	ds_bpermute_b32 v12, v21, v10
	ds_bpermute_b32 v13, v21, v11
	s_waitcnt lgkmcnt(0)
	v_pk_add_f32 v[12:13], v[10:11], v[12:13]
	s_and_saveexec_b64 s[30:31], s[2:3]
; %bb.12:                               ;   in Loop: Header=BB11_6 Depth=1
	ds_write2_b32 v20, v12, v13 offset1:1
; %bb.13:                               ;   in Loop: Header=BB11_6 Depth=1
	s_or_b64 exec, exec, s[30:31]
	s_mov_b64 s[34:35], 0
	s_mov_b64 s[30:31], 0
	s_waitcnt lgkmcnt(0)
	s_barrier
                                        ; implicit-def: $vgpr10_vgpr11
	s_and_saveexec_b64 s[36:37], s[4:5]
	s_xor_b64 s[36:37], exec, s[36:37]
	s_cbranch_execz .LBB11_15
; %bb.14:                               ;   in Loop: Header=BB11_6 Depth=1
	ds_read_b64 v[10:11], v4 offset:16392
	s_mov_b64 s[30:31], exec
	s_waitcnt lgkmcnt(0)
	v_pk_add_f32 v[10:11], v[12:13], v[10:11]
.LBB11_15:                              ;   in Loop: Header=BB11_6 Depth=1
	s_or_b64 exec, exec, s[36:37]
	s_and_b64 vcc, exec, s[34:35]
	s_cbranch_vccnz .LBB11_18
.LBB11_16:                              ;   in Loop: Header=BB11_6 Depth=1
	v_mov_b64_e32 v[8:9], v[10:11]
	s_and_saveexec_b64 s[34:35], s[30:31]
	s_cbranch_execnz .LBB11_19
	s_branch .LBB11_20
.LBB11_17:                              ;   in Loop: Header=BB11_6 Depth=1
	s_mov_b64 s[30:31], 0
                                        ; implicit-def: $vgpr10_vgpr11
	s_cbranch_execz .LBB11_16
.LBB11_18:                              ;   in Loop: Header=BB11_6 Depth=1
	s_andn2_b64 s[30:31], s[30:31], exec
	s_and_b64 s[34:35], s[4:5], exec
	s_or_b64 s[30:31], s[30:31], s[34:35]
	s_and_saveexec_b64 s[34:35], s[30:31]
.LBB11_19:                              ;   in Loop: Header=BB11_6 Depth=1
	ds_write_b64 v4, v[8:9] offset:16384
.LBB11_20:                              ;   in Loop: Header=BB11_6 Depth=1
	s_or_b64 exec, exec, s[34:35]
	s_waitcnt lgkmcnt(0)
	s_barrier
	s_and_saveexec_b64 s[30:31], s[14:15]
	s_cbranch_execz .LBB11_5
; %bb.21:                               ;   in Loop: Header=BB11_6 Depth=1
	global_load_dwordx2 v[10:11], v4, s[20:21]
	ds_read_b64 v[8:9], v4 offset:16384
	s_mov_b64 s[36:37], 0
	s_waitcnt vmcnt(0) lgkmcnt(0)
	v_mul_f32_e32 v5, v11, v9
	v_mul_f32_e32 v11, v11, v8
	v_fma_f32 v8, v8, -v10, -v5
	v_fma_f32 v10, v10, v9, -v11
                                        ; implicit-def: $vgpr5
	s_and_saveexec_b64 s[34:35], s[6:7]
	s_xor_b64 s[34:35], exec, s[34:35]
	s_cbranch_execnz .LBB11_24
; %bb.22:                               ;   in Loop: Header=BB11_6 Depth=1
	s_or_saveexec_b64 s[34:35], s[34:35]
	v_mov_b32_e32 v12, v16
	s_xor_b64 exec, exec, s[34:35]
	s_cbranch_execnz .LBB11_34
.LBB11_23:                              ;   in Loop: Header=BB11_6 Depth=1
	s_or_b64 exec, exec, s[34:35]
	s_and_b64 exec, exec, s[36:37]
	s_cbranch_execz .LBB11_5
	s_branch .LBB11_35
.LBB11_24:                              ;   in Loop: Header=BB11_6 Depth=1
	s_mul_i32 s25, s16, s17
	v_mov_b32_e32 v9, v8
	v_mov_b32_e32 v11, v10
	;; [unrolled: 1-line block ×3, first 2 shown]
	v_mov_b64_e32 v[12:13], v[0:1]
	s_and_saveexec_b64 s[36:37], s[8:9]
	s_cbranch_execz .LBB11_28
; %bb.25:                               ;   in Loop: Header=BB11_6 Depth=1
	s_add_i32 s40, s25, 0x100
	s_add_i32 s42, s25, 0x200
	;; [unrolled: 1-line block ×3, first 2 shown]
	s_mov_b32 s41, s40
	s_mov_b32 s43, s42
	;; [unrolled: 1-line block ×4, first 2 shown]
	s_mov_b64 s[38:39], 0
	v_mov_b32_e32 v5, v18
	v_mov_b32_e32 v14, v2
	v_mov_b64_e32 v[12:13], v[0:1]
.LBB11_26:                              ;   Parent Loop BB11_6 Depth=1
                                        ; =>  This Inner Loop Header: Depth=2
	v_add_u32_e32 v24, s25, v12
	v_add_u32_e32 v26, s25, v13
	v_ashrrev_i32_e32 v25, 31, v24
	v_ashrrev_i32_e32 v27, 31, v26
	v_lshl_add_u64 v[28:29], v[24:25], 3, s[0:1]
	v_lshl_add_u64 v[30:31], v[26:27], 3, s[0:1]
	flat_load_dwordx2 v[40:41], v[28:29]
	flat_load_dwordx2 v[32:33], v[30:31]
	ds_read2st64_b64 v[24:27], v14 offset1:2
	v_add_u32_e32 v34, s40, v12
	v_add_u32_e32 v36, s41, v13
	v_ashrrev_i32_e32 v35, 31, v34
	v_ashrrev_i32_e32 v37, 31, v36
	s_waitcnt lgkmcnt(0)
	v_mov_b32_e32 v39, v26
	v_mov_b32_e32 v26, v25
	;; [unrolled: 1-line block ×3, first 2 shown]
	v_pk_mul_f32 v[24:25], v[10:11], v[26:27]
	v_pk_mul_f32 v[26:27], v[8:9], v[26:27]
	v_pk_fma_f32 v[24:25], v[8:9], v[38:39], v[24:25] neg_lo:[0,0,1] neg_hi:[0,0,1]
	v_pk_fma_f32 v[26:27], v[10:11], v[38:39], v[26:27]
	v_lshl_add_u64 v[34:35], v[34:35], 3, s[0:1]
	v_lshl_add_u64 v[36:37], v[36:37], 3, s[0:1]
	v_add_u32_e32 v5, -4, v5
	s_add_i32 s46, s46, 8
	v_cmp_eq_u32_e32 vcc, 0, v5
	v_mov_b32_e32 v15, s46
	s_or_b64 s[38:39], vcc, s[38:39]
	s_waitcnt vmcnt(0)
	v_mov_b32_e32 v38, v40
	v_mov_b32_e32 v39, v32
	;; [unrolled: 1-line block ×3, first 2 shown]
	v_pk_add_f32 v[24:25], v[38:39], v[24:25]
	v_pk_add_f32 v[26:27], v[26:27], v[32:33]
	v_mov_b32_e32 v32, v24
	v_mov_b32_e32 v33, v26
	v_mov_b32_e32 v26, v25
	flat_store_dwordx2 v[28:29], v[32:33]
	flat_store_dwordx2 v[30:31], v[26:27]
	flat_load_dwordx2 v[40:41], v[34:35]
	s_nop 0
	flat_load_dwordx2 v[28:29], v[36:37]
	v_add_u32_e32 v24, s42, v12
	v_add_u32_e32 v26, s43, v13
	v_ashrrev_i32_e32 v27, 31, v26
	v_ashrrev_i32_e32 v25, 31, v24
	v_lshl_add_u64 v[30:31], v[24:25], 3, s[0:1]
	v_lshl_add_u64 v[32:33], v[26:27], 3, s[0:1]
	ds_read2st64_b64 v[24:27], v14 offset0:4 offset1:6
	s_waitcnt lgkmcnt(0)
	v_mov_b32_e32 v39, v26
	v_mov_b32_e32 v26, v25
	;; [unrolled: 1-line block ×3, first 2 shown]
	v_pk_mul_f32 v[24:25], v[10:11], v[26:27]
	v_pk_mul_f32 v[26:27], v[8:9], v[26:27]
	v_pk_fma_f32 v[24:25], v[8:9], v[38:39], v[24:25] neg_lo:[0,0,1] neg_hi:[0,0,1]
	v_pk_fma_f32 v[26:27], v[10:11], v[38:39], v[26:27]
	s_waitcnt vmcnt(0)
	v_mov_b32_e32 v38, v40
	v_mov_b32_e32 v39, v28
	;; [unrolled: 1-line block ×3, first 2 shown]
	v_pk_add_f32 v[24:25], v[38:39], v[24:25]
	v_pk_add_f32 v[26:27], v[26:27], v[28:29]
	v_mov_b32_e32 v28, v24
	v_mov_b32_e32 v29, v26
	;; [unrolled: 1-line block ×3, first 2 shown]
	flat_store_dwordx2 v[34:35], v[28:29]
	flat_store_dwordx2 v[36:37], v[26:27]
	flat_load_dwordx2 v[40:41], v[30:31]
	s_nop 0
	flat_load_dwordx2 v[28:29], v[32:33]
	v_add_u32_e32 v24, s44, v12
	v_add_u32_e32 v26, s45, v13
	v_ashrrev_i32_e32 v27, 31, v26
	v_ashrrev_i32_e32 v25, 31, v24
	v_lshl_add_u64 v[34:35], v[24:25], 3, s[0:1]
	v_lshl_add_u64 v[36:37], v[26:27], 3, s[0:1]
	ds_read2st64_b64 v[24:27], v14 offset0:8 offset1:10
	v_add_u32_e32 v13, 0x400, v13
	v_add_u32_e32 v12, 0x400, v12
	s_waitcnt lgkmcnt(0)
	v_mov_b32_e32 v39, v26
	v_mov_b32_e32 v26, v25
	;; [unrolled: 1-line block ×3, first 2 shown]
	v_pk_mul_f32 v[24:25], v[10:11], v[26:27]
	v_pk_mul_f32 v[26:27], v[8:9], v[26:27]
	v_pk_fma_f32 v[24:25], v[8:9], v[38:39], v[24:25] neg_lo:[0,0,1] neg_hi:[0,0,1]
	v_pk_fma_f32 v[26:27], v[10:11], v[38:39], v[26:27]
	s_waitcnt vmcnt(0)
	v_mov_b32_e32 v38, v40
	v_mov_b32_e32 v39, v28
	;; [unrolled: 1-line block ×3, first 2 shown]
	v_pk_add_f32 v[24:25], v[38:39], v[24:25]
	v_pk_add_f32 v[26:27], v[26:27], v[28:29]
	v_mov_b32_e32 v28, v24
	v_mov_b32_e32 v29, v26
	;; [unrolled: 1-line block ×3, first 2 shown]
	flat_store_dwordx2 v[30:31], v[28:29]
	flat_store_dwordx2 v[32:33], v[26:27]
	flat_load_dwordx2 v[32:33], v[34:35]
	s_nop 0
	flat_load_dwordx2 v[28:29], v[36:37]
	ds_read2st64_b64 v[24:27], v14 offset0:12 offset1:14
	v_add_u32_e32 v14, 0x2000, v14
	s_waitcnt lgkmcnt(0)
	v_mov_b32_e32 v31, v26
	v_mov_b32_e32 v26, v25
	;; [unrolled: 1-line block ×3, first 2 shown]
	v_pk_mul_f32 v[24:25], v[10:11], v[26:27]
	v_pk_mul_f32 v[26:27], v[8:9], v[26:27]
	v_pk_fma_f32 v[24:25], v[8:9], v[30:31], v[24:25] neg_lo:[0,0,1] neg_hi:[0,0,1]
	v_pk_fma_f32 v[26:27], v[10:11], v[30:31], v[26:27]
	s_waitcnt vmcnt(0)
	v_mov_b32_e32 v30, v32
	v_mov_b32_e32 v31, v28
	;; [unrolled: 1-line block ×3, first 2 shown]
	v_pk_add_f32 v[24:25], v[30:31], v[24:25]
	v_pk_add_f32 v[26:27], v[26:27], v[28:29]
	v_mov_b32_e32 v28, v24
	v_mov_b32_e32 v29, v26
	;; [unrolled: 1-line block ×3, first 2 shown]
	flat_store_dwordx2 v[34:35], v[28:29]
	flat_store_dwordx2 v[36:37], v[26:27]
	s_andn2_b64 exec, exec, s[38:39]
	s_cbranch_execnz .LBB11_26
; %bb.27:                               ;   in Loop: Header=BB11_6 Depth=1
	s_or_b64 exec, exec, s[38:39]
.LBB11_28:                              ;   in Loop: Header=BB11_6 Depth=1
	s_or_b64 exec, exec, s[36:37]
	s_and_saveexec_b64 s[36:37], s[10:11]
	s_cbranch_execz .LBB11_31
; %bb.29:                               ;   in Loop: Header=BB11_6 Depth=1
	v_lshl_or_b32 v5, v15, 10, v2
	s_mov_b64 s[38:39], 0
	v_mov_b32_e32 v14, v17
.LBB11_30:                              ;   Parent Loop BB11_6 Depth=1
                                        ; =>  This Inner Loop Header: Depth=2
	v_add_u32_e32 v24, s25, v12
	v_add_u32_e32 v26, s25, v13
	v_ashrrev_i32_e32 v25, 31, v24
	v_ashrrev_i32_e32 v27, 31, v26
	v_lshl_add_u64 v[28:29], v[24:25], 3, s[0:1]
	v_lshl_add_u64 v[30:31], v[26:27], 3, s[0:1]
	flat_load_dwordx2 v[36:37], v[28:29]
	flat_load_dwordx2 v[32:33], v[30:31]
	ds_read2st64_b64 v[24:27], v5 offset1:2
	v_add_u32_e32 v14, -1, v14
	v_cmp_eq_u32_e32 vcc, 0, v14
	v_add_u32_e32 v13, 0x100, v13
	v_add_u32_e32 v12, 0x100, v12
	s_waitcnt lgkmcnt(0)
	v_mov_b32_e32 v35, v26
	v_mov_b32_e32 v26, v25
	;; [unrolled: 1-line block ×3, first 2 shown]
	v_pk_mul_f32 v[24:25], v[10:11], v[26:27]
	v_pk_mul_f32 v[26:27], v[8:9], v[26:27]
	v_pk_fma_f32 v[24:25], v[8:9], v[34:35], v[24:25] neg_lo:[0,0,1] neg_hi:[0,0,1]
	v_pk_fma_f32 v[26:27], v[10:11], v[34:35], v[26:27]
	v_add_u32_e32 v5, 0x800, v5
	s_or_b64 s[38:39], vcc, s[38:39]
	s_waitcnt vmcnt(0)
	v_mov_b32_e32 v34, v36
	v_mov_b32_e32 v35, v32
	;; [unrolled: 1-line block ×3, first 2 shown]
	v_pk_add_f32 v[24:25], v[34:35], v[24:25]
	v_pk_add_f32 v[26:27], v[26:27], v[32:33]
	v_mov_b32_e32 v32, v24
	v_mov_b32_e32 v33, v26
	;; [unrolled: 1-line block ×3, first 2 shown]
	flat_store_dwordx2 v[28:29], v[32:33]
	flat_store_dwordx2 v[30:31], v[26:27]
	s_andn2_b64 exec, exec, s[38:39]
	s_cbranch_execnz .LBB11_30
.LBB11_31:                              ;   in Loop: Header=BB11_6 Depth=1
	s_or_b64 exec, exec, s[36:37]
	s_mov_b64 s[36:37], 0
	s_and_saveexec_b64 s[38:39], s[12:13]
	s_xor_b64 s[38:39], exec, s[38:39]
; %bb.32:                               ;   in Loop: Header=BB11_6 Depth=1
	s_mov_b64 s[36:37], exec
; %bb.33:                               ;   in Loop: Header=BB11_6 Depth=1
	s_or_b64 exec, exec, s[38:39]
	s_and_b64 s[36:37], s[36:37], exec
	v_mov_b32_e32 v5, v22
	s_or_saveexec_b64 s[34:35], s[34:35]
	v_mov_b32_e32 v12, v16
	s_xor_b64 exec, exec, s[34:35]
	s_cbranch_execz .LBB11_23
.LBB11_34:                              ;   in Loop: Header=BB11_6 Depth=1
	s_or_b64 s[36:37], s[36:37], exec
	v_mov_b32_e32 v12, v0
	v_mov_b32_e32 v5, v2
	s_or_b64 exec, exec, s[34:35]
	s_and_b64 exec, exec, s[36:37]
	s_cbranch_execz .LBB11_5
.LBB11_35:                              ;   in Loop: Header=BB11_6 Depth=1
	s_add_u32 s28, s0, s28
	v_ashrrev_i32_e32 v13, 31, v12
	s_addc_u32 s29, s1, s29
	v_mov_b32_e32 v11, v10
	v_mov_b32_e32 v9, v8
	v_lshl_add_u64 v[14:15], v[12:13], 3, s[28:29]
	s_mov_b64 s[28:29], 0
.LBB11_36:                              ;   Parent Loop BB11_6 Depth=1
                                        ; =>  This Inner Loop Header: Depth=2
	flat_load_dwordx2 v[24:25], v[14:15]
	ds_read_b64 v[26:27], v5
	v_add_u32_e32 v12, 0x80, v12
	v_cmp_le_i32_e32 vcc, s18, v12
	s_or_b64 s[28:29], vcc, s[28:29]
	v_add_u32_e32 v5, 0x400, v5
	s_waitcnt lgkmcnt(0)
	v_pk_mul_f32 v[28:29], v[10:11], v[26:27] op_sel:[0,1] op_sel_hi:[1,0]
	s_nop 0
	v_pk_fma_f32 v[30:31], v[8:9], v[26:27], v[28:29] neg_lo:[0,0,1] neg_hi:[0,0,1]
	v_pk_fma_f32 v[26:27], v[8:9], v[26:27], v[28:29]
	s_nop 0
	v_mov_b32_e32 v31, v27
	s_waitcnt vmcnt(0)
	v_pk_add_f32 v[24:25], v[24:25], v[30:31]
	flat_store_dwordx2 v[14:15], v[24:25]
	v_lshl_add_u64 v[14:15], v[14:15], 0, s[26:27]
	s_andn2_b64 exec, exec, s[28:29]
	s_cbranch_execnz .LBB11_36
	s_branch .LBB11_5
.LBB11_37:
	s_endpgm
	.section	.rodata,"a",@progbits
	.p2align	6, 0x0
	.amdhsa_kernel _ZN9rocsolver6v33100L22larf_left_kernel_smallILi128E19rocblas_complex_numIfEiPKPS3_EEvT1_S7_T2_lS7_lPKT0_lS8_lS7_l
		.amdhsa_group_segment_fixed_size 17408
		.amdhsa_private_segment_fixed_size 0
		.amdhsa_kernarg_size 88
		.amdhsa_user_sgpr_count 2
		.amdhsa_user_sgpr_dispatch_ptr 0
		.amdhsa_user_sgpr_queue_ptr 0
		.amdhsa_user_sgpr_kernarg_segment_ptr 1
		.amdhsa_user_sgpr_dispatch_id 0
		.amdhsa_user_sgpr_kernarg_preload_length 0
		.amdhsa_user_sgpr_kernarg_preload_offset 0
		.amdhsa_user_sgpr_private_segment_size 0
		.amdhsa_uses_dynamic_stack 0
		.amdhsa_enable_private_segment 0
		.amdhsa_system_sgpr_workgroup_id_x 1
		.amdhsa_system_sgpr_workgroup_id_y 1
		.amdhsa_system_sgpr_workgroup_id_z 0
		.amdhsa_system_sgpr_workgroup_info 0
		.amdhsa_system_vgpr_workitem_id 0
		.amdhsa_next_free_vgpr 81
		.amdhsa_next_free_sgpr 96
		.amdhsa_accum_offset 44
		.amdhsa_reserve_vcc 1
		.amdhsa_float_round_mode_32 0
		.amdhsa_float_round_mode_16_64 0
		.amdhsa_float_denorm_mode_32 3
		.amdhsa_float_denorm_mode_16_64 3
		.amdhsa_dx10_clamp 1
		.amdhsa_ieee_mode 1
		.amdhsa_fp16_overflow 0
		.amdhsa_tg_split 0
		.amdhsa_exception_fp_ieee_invalid_op 0
		.amdhsa_exception_fp_denorm_src 0
		.amdhsa_exception_fp_ieee_div_zero 0
		.amdhsa_exception_fp_ieee_overflow 0
		.amdhsa_exception_fp_ieee_underflow 0
		.amdhsa_exception_fp_ieee_inexact 0
		.amdhsa_exception_int_div_zero 0
	.end_amdhsa_kernel
	.section	.text._ZN9rocsolver6v33100L22larf_left_kernel_smallILi128E19rocblas_complex_numIfEiPKPS3_EEvT1_S7_T2_lS7_lPKT0_lS8_lS7_l,"axG",@progbits,_ZN9rocsolver6v33100L22larf_left_kernel_smallILi128E19rocblas_complex_numIfEiPKPS3_EEvT1_S7_T2_lS7_lPKT0_lS8_lS7_l,comdat
.Lfunc_end11:
	.size	_ZN9rocsolver6v33100L22larf_left_kernel_smallILi128E19rocblas_complex_numIfEiPKPS3_EEvT1_S7_T2_lS7_lPKT0_lS8_lS7_l, .Lfunc_end11-_ZN9rocsolver6v33100L22larf_left_kernel_smallILi128E19rocblas_complex_numIfEiPKPS3_EEvT1_S7_T2_lS7_lPKT0_lS8_lS7_l
                                        ; -- End function
	.set _ZN9rocsolver6v33100L22larf_left_kernel_smallILi128E19rocblas_complex_numIfEiPKPS3_EEvT1_S7_T2_lS7_lPKT0_lS8_lS7_l.num_vgpr, 42
	.set _ZN9rocsolver6v33100L22larf_left_kernel_smallILi128E19rocblas_complex_numIfEiPKPS3_EEvT1_S7_T2_lS7_lPKT0_lS8_lS7_l.num_agpr, 0
	.set _ZN9rocsolver6v33100L22larf_left_kernel_smallILi128E19rocblas_complex_numIfEiPKPS3_EEvT1_S7_T2_lS7_lPKT0_lS8_lS7_l.numbered_sgpr, 47
	.set _ZN9rocsolver6v33100L22larf_left_kernel_smallILi128E19rocblas_complex_numIfEiPKPS3_EEvT1_S7_T2_lS7_lPKT0_lS8_lS7_l.num_named_barrier, 0
	.set _ZN9rocsolver6v33100L22larf_left_kernel_smallILi128E19rocblas_complex_numIfEiPKPS3_EEvT1_S7_T2_lS7_lPKT0_lS8_lS7_l.private_seg_size, 0
	.set _ZN9rocsolver6v33100L22larf_left_kernel_smallILi128E19rocblas_complex_numIfEiPKPS3_EEvT1_S7_T2_lS7_lPKT0_lS8_lS7_l.uses_vcc, 1
	.set _ZN9rocsolver6v33100L22larf_left_kernel_smallILi128E19rocblas_complex_numIfEiPKPS3_EEvT1_S7_T2_lS7_lPKT0_lS8_lS7_l.uses_flat_scratch, 0
	.set _ZN9rocsolver6v33100L22larf_left_kernel_smallILi128E19rocblas_complex_numIfEiPKPS3_EEvT1_S7_T2_lS7_lPKT0_lS8_lS7_l.has_dyn_sized_stack, 0
	.set _ZN9rocsolver6v33100L22larf_left_kernel_smallILi128E19rocblas_complex_numIfEiPKPS3_EEvT1_S7_T2_lS7_lPKT0_lS8_lS7_l.has_recursion, 0
	.set _ZN9rocsolver6v33100L22larf_left_kernel_smallILi128E19rocblas_complex_numIfEiPKPS3_EEvT1_S7_T2_lS7_lPKT0_lS8_lS7_l.has_indirect_call, 0
	.section	.AMDGPU.csdata,"",@progbits
; Kernel info:
; codeLenInByte = 2476
; TotalNumSgprs: 53
; NumVgprs: 42
; NumAgprs: 0
; TotalNumVgprs: 42
; ScratchSize: 0
; MemoryBound: 0
; FloatMode: 240
; IeeeMode: 1
; LDSByteSize: 17408 bytes/workgroup (compile time only)
; SGPRBlocks: 12
; VGPRBlocks: 10
; NumSGPRsForWavesPerEU: 102
; NumVGPRsForWavesPerEU: 81
; AccumOffset: 44
; Occupancy: 5
; WaveLimiterHint : 1
; COMPUTE_PGM_RSRC2:SCRATCH_EN: 0
; COMPUTE_PGM_RSRC2:USER_SGPR: 2
; COMPUTE_PGM_RSRC2:TRAP_HANDLER: 0
; COMPUTE_PGM_RSRC2:TGID_X_EN: 1
; COMPUTE_PGM_RSRC2:TGID_Y_EN: 1
; COMPUTE_PGM_RSRC2:TGID_Z_EN: 0
; COMPUTE_PGM_RSRC2:TIDIG_COMP_CNT: 0
; COMPUTE_PGM_RSRC3_GFX90A:ACCUM_OFFSET: 10
; COMPUTE_PGM_RSRC3_GFX90A:TG_SPLIT: 0
	.section	.text._ZN9rocsolver6v33100L22larf_left_kernel_smallILi256E19rocblas_complex_numIfEiPKPS3_EEvT1_S7_T2_lS7_lPKT0_lS8_lS7_l,"axG",@progbits,_ZN9rocsolver6v33100L22larf_left_kernel_smallILi256E19rocblas_complex_numIfEiPKPS3_EEvT1_S7_T2_lS7_lPKT0_lS8_lS7_l,comdat
	.globl	_ZN9rocsolver6v33100L22larf_left_kernel_smallILi256E19rocblas_complex_numIfEiPKPS3_EEvT1_S7_T2_lS7_lPKT0_lS8_lS7_l ; -- Begin function _ZN9rocsolver6v33100L22larf_left_kernel_smallILi256E19rocblas_complex_numIfEiPKPS3_EEvT1_S7_T2_lS7_lPKT0_lS8_lS7_l
	.p2align	8
	.type	_ZN9rocsolver6v33100L22larf_left_kernel_smallILi256E19rocblas_complex_numIfEiPKPS3_EEvT1_S7_T2_lS7_lPKT0_lS8_lS7_l,@function
_ZN9rocsolver6v33100L22larf_left_kernel_smallILi256E19rocblas_complex_numIfEiPKPS3_EEvT1_S7_T2_lS7_lPKT0_lS8_lS7_l: ; @_ZN9rocsolver6v33100L22larf_left_kernel_smallILi256E19rocblas_complex_numIfEiPKPS3_EEvT1_S7_T2_lS7_lPKT0_lS8_lS7_l
; %bb.0:
	s_load_dwordx8 s[4:11], s[0:1], 0x28
	s_load_dwordx2 s[18:19], s[0:1], 0x0
	s_mov_b32 s16, s3
	s_ashr_i32 s3, s2, 31
	s_lshl_b64 s[20:21], s[2:3], 3
	s_waitcnt lgkmcnt(0)
	s_add_u32 s8, s8, s20
	s_addc_u32 s9, s9, s21
	s_load_dwordx2 s[8:9], s[8:9], 0x0
	v_cmp_gt_i32_e64 s[14:15], s18, v0
	v_lshlrev_b32_e32 v2, 3, v0
	s_and_saveexec_b64 s[12:13], s[14:15]
	s_cbranch_execz .LBB12_3
; %bb.1:
	s_load_dwordx4 s[24:27], s[0:1], 0x8
	s_load_dword s17, s[0:1], 0x18
	v_lshlrev_b32_e32 v1, 3, v0
	s_waitcnt lgkmcnt(0)
	s_add_u32 s20, s24, s20
	s_addc_u32 s21, s25, s21
	s_load_dwordx2 s[22:23], s[20:21], 0x0
	s_lshl_b64 s[24:25], s[26:27], 3
	v_mul_lo_u32 v3, v0, s17
	s_mov_b64 s[20:21], 0
	s_waitcnt lgkmcnt(0)
	s_add_u32 s22, s22, s24
	s_addc_u32 s23, s23, s25
	s_sub_i32 s24, 1, s18
	s_mul_i32 s24, s17, s24
	s_cmp_lt_i32 s17, 1
	s_cselect_b32 s24, s24, 0
	s_lshl_b32 s17, s17, 8
	v_add_u32_e32 v4, s24, v3
	v_mov_b32_e32 v3, v0
.LBB12_2:                               ; =>This Inner Loop Header: Depth=1
	v_ashrrev_i32_e32 v5, 31, v4
	v_lshl_add_u64 v[6:7], v[4:5], 3, s[22:23]
	flat_load_dwordx2 v[6:7], v[6:7]
	v_add_u32_e32 v3, 0x100, v3
	v_cmp_le_i32_e32 vcc, s18, v3
	v_add_u32_e32 v4, s17, v4
	s_or_b64 s[20:21], vcc, s[20:21]
	s_waitcnt vmcnt(0) lgkmcnt(0)
	ds_write_b64 v1, v[6:7]
	v_add_u32_e32 v1, 0x800, v1
	s_andn2_b64 exec, exec, s[20:21]
	s_cbranch_execnz .LBB12_2
.LBB12_3:
	s_or_b64 exec, exec, s[12:13]
	s_cmp_ge_i32 s16, s19
	s_waitcnt lgkmcnt(0)
	s_barrier
	s_cbranch_scc1 .LBB12_37
; %bb.4:
	s_load_dword s17, s[0:1], 0x48
	s_lshl_b64 s[0:1], s[10:11], 3
	s_add_u32 s0, s8, s0
	s_mul_i32 s3, s6, s3
	s_mul_hi_u32 s8, s6, s2
	s_addc_u32 s1, s9, s1
	s_add_i32 s3, s8, s3
	s_mul_i32 s7, s7, s2
	s_add_i32 s3, s3, s7
	s_mul_i32 s2, s6, s2
	s_lshl_b64 s[2:3], s[2:3], 3
	s_add_u32 s20, s4, s2
	v_and_b32_e32 v1, 63, v0
	s_addc_u32 s21, s5, s3
	v_cmp_eq_u32_e64 s[2:3], 0, v1
	v_xad_u32 v1, v0, -1, s18
	v_lshrrev_b32_e32 v3, 8, v1
	v_add_u32_e32 v4, 1, v3
	v_add_u32_e32 v3, -1, v3
	v_and_b32_e32 v7, 0x1fffffe, v4
	v_lshrrev_b32_e32 v6, 1, v3
	v_cmp_ne_u32_e64 s[12:13], v4, v7
	v_mov_b32_e32 v4, 0
	v_add_u32_e32 v6, 1, v6
	v_cmp_lt_u32_e64 s[8:9], 5, v3
	v_mov_b32_e32 v3, v4
	v_lshrrev_b32_e32 v5, 3, v0
	v_lshl_or_b32 v16, v7, 8, v0
	v_and_b32_e32 v17, 3, v6
	v_and_b32_e32 v18, -4, v6
	v_lshl_add_u64 v[6:7], s[0:1], 0, v[2:3]
	v_mbcnt_lo_u32_b32 v3, -1, 0
	s_cmp_gt_i32 s18, 1
	s_movk_i32 s6, 0xff
	v_mbcnt_hi_u32_b32 v3, -1, v3
	v_or_b32_e32 v20, 0x4000, v5
	v_mov_b32_e32 v5, 0x80
	s_cselect_b64 s[22:23], -1, 0
	v_cmp_eq_u32_e64 s[4:5], 0, v0
	v_cmp_lt_u32_e64 s[6:7], s6, v1
	v_or_b32_e32 v1, 0x100, v0
	v_cmp_ne_u32_e64 s[10:11], 0, v17
	s_waitcnt lgkmcnt(0)
	s_mul_i32 s24, s16, s17
	s_lshl_b32 s33, s17, 6
	s_mov_b64 s[26:27], 0x800
	v_and_b32_e32 v19, 63, v3
	v_mov_b32_e32 v21, 0x4008
	v_lshl_or_b32 v22, v3, 2, v5
	s_branch .LBB12_6
.LBB12_5:                               ;   in Loop: Header=BB12_6 Depth=1
	s_or_b64 exec, exec, s[30:31]
	s_add_i32 s16, s16, 64
	s_add_i32 s24, s24, s33
	s_cmp_ge_i32 s16, s19
	s_cbranch_scc1 .LBB12_37
.LBB12_6:                               ; =>This Loop Header: Depth=1
                                        ;     Child Loop BB12_8 Depth 2
                                        ;     Child Loop BB12_26 Depth 2
                                        ;     Child Loop BB12_30 Depth 2
                                        ;     Child Loop BB12_36 Depth 2
	s_ashr_i32 s25, s24, 31
	v_mov_b32_e32 v5, v4
	s_lshl_b64 s[28:29], s[24:25], 3
	v_mov_b64_e32 v[8:9], v[4:5]
	s_and_saveexec_b64 s[30:31], s[14:15]
	s_cbranch_execz .LBB12_10
; %bb.7:                                ;   in Loop: Header=BB12_6 Depth=1
	v_lshl_add_u64 v[10:11], v[6:7], 0, s[28:29]
	v_mov_b32_e32 v9, 0
	s_mov_b64 s[34:35], 0
	v_mov_b32_e32 v5, v2
	v_mov_b32_e32 v12, v0
	;; [unrolled: 1-line block ×3, first 2 shown]
.LBB12_8:                               ;   Parent Loop BB12_6 Depth=1
                                        ; =>  This Inner Loop Header: Depth=2
	flat_load_dwordx2 v[14:15], v[10:11]
	ds_read_b64 v[24:25], v5
	v_add_u32_e32 v12, 0x100, v12
	v_cmp_le_i32_e32 vcc, s18, v12
	v_add_u32_e32 v5, 0x800, v5
	v_lshl_add_u64 v[10:11], v[10:11], 0, s[26:27]
	s_or_b64 s[34:35], vcc, s[34:35]
	s_waitcnt vmcnt(0) lgkmcnt(0)
	v_mul_f32_e32 v13, v15, v25
	v_mul_f32_e32 v15, v15, v24
	v_fmac_f32_e32 v13, v14, v24
	v_fma_f32 v14, v14, v25, -v15
	v_add_f32_e32 v8, v8, v13
	v_add_f32_e32 v9, v9, v14
	s_andn2_b64 exec, exec, s[34:35]
	s_cbranch_execnz .LBB12_8
; %bb.9:                                ;   in Loop: Header=BB12_6 Depth=1
	s_or_b64 exec, exec, s[34:35]
.LBB12_10:                              ;   in Loop: Header=BB12_6 Depth=1
	s_or_b64 exec, exec, s[30:31]
	s_and_b64 vcc, exec, s[22:23]
	s_cbranch_vccz .LBB12_17
; %bb.11:                               ;   in Loop: Header=BB12_6 Depth=1
	v_cmp_ne_u32_e32 vcc, 63, v19
	s_nop 1
	v_addc_co_u32_e32 v5, vcc, 0, v3, vcc
	v_lshlrev_b32_e32 v5, 2, v5
	ds_bpermute_b32 v10, v5, v8
	ds_bpermute_b32 v11, v5, v9
	v_cmp_gt_u32_e32 vcc, 62, v19
	s_waitcnt lgkmcnt(0)
	v_pk_add_f32 v[10:11], v[8:9], v[10:11]
	v_cndmask_b32_e64 v5, 0, 2, vcc
	v_add_lshl_u32 v5, v5, v3, 2
	ds_bpermute_b32 v12, v5, v10
	ds_bpermute_b32 v13, v5, v11
	v_cmp_gt_u32_e32 vcc, 60, v19
	s_waitcnt lgkmcnt(0)
	v_pk_add_f32 v[10:11], v[10:11], v[12:13]
	v_cndmask_b32_e64 v5, 0, 4, vcc
	v_add_lshl_u32 v5, v5, v3, 2
	;; [unrolled: 7-line block ×4, first 2 shown]
	ds_bpermute_b32 v12, v5, v10
	ds_bpermute_b32 v13, v5, v11
	s_waitcnt lgkmcnt(0)
	v_pk_add_f32 v[10:11], v[10:11], v[12:13]
	ds_bpermute_b32 v12, v22, v10
	ds_bpermute_b32 v13, v22, v11
	s_waitcnt lgkmcnt(0)
	v_pk_add_f32 v[12:13], v[10:11], v[12:13]
	s_and_saveexec_b64 s[30:31], s[2:3]
; %bb.12:                               ;   in Loop: Header=BB12_6 Depth=1
	ds_write2_b32 v20, v12, v13 offset1:1
; %bb.13:                               ;   in Loop: Header=BB12_6 Depth=1
	s_or_b64 exec, exec, s[30:31]
	s_mov_b64 s[34:35], 0
	s_mov_b64 s[30:31], 0
	s_waitcnt lgkmcnt(0)
	s_barrier
                                        ; implicit-def: $vgpr10_vgpr11
	s_and_saveexec_b64 s[36:37], s[4:5]
	s_xor_b64 s[36:37], exec, s[36:37]
	s_cbranch_execz .LBB12_15
; %bb.14:                               ;   in Loop: Header=BB12_6 Depth=1
	ds_read2_b64 v[24:27], v21 offset1:1
	ds_read_b64 v[10:11], v4 offset:16408
	s_mov_b64 s[30:31], exec
	s_waitcnt lgkmcnt(0)
	v_pk_add_f32 v[12:13], v[12:13], v[24:25]
	s_nop 0
	v_pk_add_f32 v[12:13], v[12:13], v[26:27]
	s_waitcnt lgkmcnt(0)
	v_pk_add_f32 v[10:11], v[12:13], v[10:11]
.LBB12_15:                              ;   in Loop: Header=BB12_6 Depth=1
	s_or_b64 exec, exec, s[36:37]
	s_and_b64 vcc, exec, s[34:35]
	s_cbranch_vccnz .LBB12_18
.LBB12_16:                              ;   in Loop: Header=BB12_6 Depth=1
	v_mov_b64_e32 v[8:9], v[10:11]
	s_and_saveexec_b64 s[34:35], s[30:31]
	s_cbranch_execnz .LBB12_19
	s_branch .LBB12_20
.LBB12_17:                              ;   in Loop: Header=BB12_6 Depth=1
	s_mov_b64 s[30:31], 0
                                        ; implicit-def: $vgpr10_vgpr11
	s_cbranch_execz .LBB12_16
.LBB12_18:                              ;   in Loop: Header=BB12_6 Depth=1
	s_andn2_b64 s[30:31], s[30:31], exec
	s_and_b64 s[34:35], s[4:5], exec
	s_or_b64 s[30:31], s[30:31], s[34:35]
	s_and_saveexec_b64 s[34:35], s[30:31]
.LBB12_19:                              ;   in Loop: Header=BB12_6 Depth=1
	ds_write_b64 v4, v[8:9] offset:16384
.LBB12_20:                              ;   in Loop: Header=BB12_6 Depth=1
	s_or_b64 exec, exec, s[34:35]
	s_waitcnt lgkmcnt(0)
	s_barrier
	s_and_saveexec_b64 s[30:31], s[14:15]
	s_cbranch_execz .LBB12_5
; %bb.21:                               ;   in Loop: Header=BB12_6 Depth=1
	global_load_dwordx2 v[10:11], v4, s[20:21]
	ds_read_b64 v[8:9], v4 offset:16384
	s_mov_b64 s[36:37], 0
	s_waitcnt vmcnt(0) lgkmcnt(0)
	v_mul_f32_e32 v5, v11, v9
	v_mul_f32_e32 v11, v11, v8
	v_fma_f32 v8, v8, -v10, -v5
	v_fma_f32 v10, v10, v9, -v11
                                        ; implicit-def: $vgpr5
	s_and_saveexec_b64 s[34:35], s[6:7]
	s_xor_b64 s[34:35], exec, s[34:35]
	s_cbranch_execnz .LBB12_24
; %bb.22:                               ;   in Loop: Header=BB12_6 Depth=1
	s_or_saveexec_b64 s[34:35], s[34:35]
	v_mov_b32_e32 v12, v16
	s_xor_b64 exec, exec, s[34:35]
	s_cbranch_execnz .LBB12_34
.LBB12_23:                              ;   in Loop: Header=BB12_6 Depth=1
	s_or_b64 exec, exec, s[34:35]
	s_and_b64 exec, exec, s[36:37]
	s_cbranch_execz .LBB12_5
	s_branch .LBB12_35
.LBB12_24:                              ;   in Loop: Header=BB12_6 Depth=1
	s_mul_i32 s25, s16, s17
	v_mov_b32_e32 v9, v8
	v_mov_b32_e32 v11, v10
	;; [unrolled: 1-line block ×3, first 2 shown]
	v_mov_b64_e32 v[12:13], v[0:1]
	s_and_saveexec_b64 s[36:37], s[8:9]
	s_cbranch_execz .LBB12_28
; %bb.25:                               ;   in Loop: Header=BB12_6 Depth=1
	s_add_i32 s40, s25, 0x200
	s_add_i32 s42, s25, 0x400
	;; [unrolled: 1-line block ×3, first 2 shown]
	s_mov_b32 s41, s40
	s_mov_b32 s43, s42
	;; [unrolled: 1-line block ×4, first 2 shown]
	s_mov_b64 s[38:39], 0
	v_mov_b32_e32 v5, v18
	v_mov_b32_e32 v14, v2
	v_mov_b64_e32 v[12:13], v[0:1]
.LBB12_26:                              ;   Parent Loop BB12_6 Depth=1
                                        ; =>  This Inner Loop Header: Depth=2
	v_add_u32_e32 v24, s25, v12
	v_add_u32_e32 v26, s25, v13
	v_ashrrev_i32_e32 v25, 31, v24
	v_ashrrev_i32_e32 v27, 31, v26
	v_lshl_add_u64 v[28:29], v[24:25], 3, s[0:1]
	v_lshl_add_u64 v[30:31], v[26:27], 3, s[0:1]
	flat_load_dwordx2 v[40:41], v[28:29]
	flat_load_dwordx2 v[32:33], v[30:31]
	ds_read2st64_b64 v[24:27], v14 offset1:4
	v_add_u32_e32 v34, s40, v12
	v_add_u32_e32 v36, s41, v13
	v_ashrrev_i32_e32 v35, 31, v34
	v_ashrrev_i32_e32 v37, 31, v36
	s_waitcnt lgkmcnt(0)
	v_mov_b32_e32 v39, v26
	v_mov_b32_e32 v26, v25
	;; [unrolled: 1-line block ×3, first 2 shown]
	v_pk_mul_f32 v[24:25], v[10:11], v[26:27]
	v_pk_mul_f32 v[26:27], v[8:9], v[26:27]
	v_pk_fma_f32 v[24:25], v[8:9], v[38:39], v[24:25] neg_lo:[0,0,1] neg_hi:[0,0,1]
	v_pk_fma_f32 v[26:27], v[10:11], v[38:39], v[26:27]
	v_lshl_add_u64 v[34:35], v[34:35], 3, s[0:1]
	v_lshl_add_u64 v[36:37], v[36:37], 3, s[0:1]
	v_add_u32_e32 v5, -4, v5
	s_add_i32 s46, s46, 8
	v_cmp_eq_u32_e32 vcc, 0, v5
	v_mov_b32_e32 v15, s46
	s_or_b64 s[38:39], vcc, s[38:39]
	s_waitcnt vmcnt(0)
	v_mov_b32_e32 v38, v40
	v_mov_b32_e32 v39, v32
	;; [unrolled: 1-line block ×3, first 2 shown]
	v_pk_add_f32 v[24:25], v[38:39], v[24:25]
	v_pk_add_f32 v[26:27], v[26:27], v[32:33]
	v_mov_b32_e32 v32, v24
	v_mov_b32_e32 v33, v26
	;; [unrolled: 1-line block ×3, first 2 shown]
	flat_store_dwordx2 v[28:29], v[32:33]
	flat_store_dwordx2 v[30:31], v[26:27]
	flat_load_dwordx2 v[40:41], v[34:35]
	s_nop 0
	flat_load_dwordx2 v[28:29], v[36:37]
	v_add_u32_e32 v24, s42, v12
	v_add_u32_e32 v26, s43, v13
	v_ashrrev_i32_e32 v27, 31, v26
	v_ashrrev_i32_e32 v25, 31, v24
	v_lshl_add_u64 v[30:31], v[24:25], 3, s[0:1]
	v_lshl_add_u64 v[32:33], v[26:27], 3, s[0:1]
	ds_read2st64_b64 v[24:27], v14 offset0:8 offset1:12
	s_waitcnt lgkmcnt(0)
	v_mov_b32_e32 v39, v26
	v_mov_b32_e32 v26, v25
	v_mov_b32_e32 v38, v24
	v_pk_mul_f32 v[24:25], v[10:11], v[26:27]
	v_pk_mul_f32 v[26:27], v[8:9], v[26:27]
	v_pk_fma_f32 v[24:25], v[8:9], v[38:39], v[24:25] neg_lo:[0,0,1] neg_hi:[0,0,1]
	v_pk_fma_f32 v[26:27], v[10:11], v[38:39], v[26:27]
	s_waitcnt vmcnt(0)
	v_mov_b32_e32 v38, v40
	v_mov_b32_e32 v39, v28
	;; [unrolled: 1-line block ×3, first 2 shown]
	v_pk_add_f32 v[24:25], v[38:39], v[24:25]
	v_pk_add_f32 v[26:27], v[26:27], v[28:29]
	v_mov_b32_e32 v28, v24
	v_mov_b32_e32 v29, v26
	;; [unrolled: 1-line block ×3, first 2 shown]
	flat_store_dwordx2 v[34:35], v[28:29]
	flat_store_dwordx2 v[36:37], v[26:27]
	flat_load_dwordx2 v[40:41], v[30:31]
	s_nop 0
	flat_load_dwordx2 v[28:29], v[32:33]
	v_add_u32_e32 v24, s44, v12
	v_add_u32_e32 v26, s45, v13
	v_ashrrev_i32_e32 v27, 31, v26
	v_ashrrev_i32_e32 v25, 31, v24
	v_lshl_add_u64 v[34:35], v[24:25], 3, s[0:1]
	v_lshl_add_u64 v[36:37], v[26:27], 3, s[0:1]
	ds_read2st64_b64 v[24:27], v14 offset0:16 offset1:20
	v_add_u32_e32 v13, 0x800, v13
	v_add_u32_e32 v12, 0x800, v12
	s_waitcnt lgkmcnt(0)
	v_mov_b32_e32 v39, v26
	v_mov_b32_e32 v26, v25
	;; [unrolled: 1-line block ×3, first 2 shown]
	v_pk_mul_f32 v[24:25], v[10:11], v[26:27]
	v_pk_mul_f32 v[26:27], v[8:9], v[26:27]
	v_pk_fma_f32 v[24:25], v[8:9], v[38:39], v[24:25] neg_lo:[0,0,1] neg_hi:[0,0,1]
	v_pk_fma_f32 v[26:27], v[10:11], v[38:39], v[26:27]
	s_waitcnt vmcnt(0)
	v_mov_b32_e32 v38, v40
	v_mov_b32_e32 v39, v28
	;; [unrolled: 1-line block ×3, first 2 shown]
	v_pk_add_f32 v[24:25], v[38:39], v[24:25]
	v_pk_add_f32 v[26:27], v[26:27], v[28:29]
	v_mov_b32_e32 v28, v24
	v_mov_b32_e32 v29, v26
	;; [unrolled: 1-line block ×3, first 2 shown]
	flat_store_dwordx2 v[30:31], v[28:29]
	flat_store_dwordx2 v[32:33], v[26:27]
	flat_load_dwordx2 v[32:33], v[34:35]
	s_nop 0
	flat_load_dwordx2 v[28:29], v[36:37]
	ds_read2st64_b64 v[24:27], v14 offset0:24 offset1:28
	v_add_u32_e32 v14, 0x4000, v14
	s_waitcnt lgkmcnt(0)
	v_mov_b32_e32 v31, v26
	v_mov_b32_e32 v26, v25
	;; [unrolled: 1-line block ×3, first 2 shown]
	v_pk_mul_f32 v[24:25], v[10:11], v[26:27]
	v_pk_mul_f32 v[26:27], v[8:9], v[26:27]
	v_pk_fma_f32 v[24:25], v[8:9], v[30:31], v[24:25] neg_lo:[0,0,1] neg_hi:[0,0,1]
	v_pk_fma_f32 v[26:27], v[10:11], v[30:31], v[26:27]
	s_waitcnt vmcnt(0)
	v_mov_b32_e32 v30, v32
	v_mov_b32_e32 v31, v28
	;; [unrolled: 1-line block ×3, first 2 shown]
	v_pk_add_f32 v[24:25], v[30:31], v[24:25]
	v_pk_add_f32 v[26:27], v[26:27], v[28:29]
	v_mov_b32_e32 v28, v24
	v_mov_b32_e32 v29, v26
	;; [unrolled: 1-line block ×3, first 2 shown]
	flat_store_dwordx2 v[34:35], v[28:29]
	flat_store_dwordx2 v[36:37], v[26:27]
	s_andn2_b64 exec, exec, s[38:39]
	s_cbranch_execnz .LBB12_26
; %bb.27:                               ;   in Loop: Header=BB12_6 Depth=1
	s_or_b64 exec, exec, s[38:39]
.LBB12_28:                              ;   in Loop: Header=BB12_6 Depth=1
	s_or_b64 exec, exec, s[36:37]
	s_and_saveexec_b64 s[36:37], s[10:11]
	s_cbranch_execz .LBB12_31
; %bb.29:                               ;   in Loop: Header=BB12_6 Depth=1
	v_lshl_or_b32 v5, v15, 11, v2
	s_mov_b64 s[38:39], 0
	v_mov_b32_e32 v14, v17
.LBB12_30:                              ;   Parent Loop BB12_6 Depth=1
                                        ; =>  This Inner Loop Header: Depth=2
	v_add_u32_e32 v24, s25, v12
	v_add_u32_e32 v26, s25, v13
	v_ashrrev_i32_e32 v25, 31, v24
	v_ashrrev_i32_e32 v27, 31, v26
	v_lshl_add_u64 v[28:29], v[24:25], 3, s[0:1]
	v_lshl_add_u64 v[30:31], v[26:27], 3, s[0:1]
	flat_load_dwordx2 v[36:37], v[28:29]
	flat_load_dwordx2 v[32:33], v[30:31]
	ds_read2st64_b64 v[24:27], v5 offset1:4
	v_add_u32_e32 v14, -1, v14
	v_cmp_eq_u32_e32 vcc, 0, v14
	v_add_u32_e32 v13, 0x200, v13
	v_add_u32_e32 v12, 0x200, v12
	s_waitcnt lgkmcnt(0)
	v_mov_b32_e32 v35, v26
	v_mov_b32_e32 v26, v25
	;; [unrolled: 1-line block ×3, first 2 shown]
	v_pk_mul_f32 v[24:25], v[10:11], v[26:27]
	v_pk_mul_f32 v[26:27], v[8:9], v[26:27]
	v_pk_fma_f32 v[24:25], v[8:9], v[34:35], v[24:25] neg_lo:[0,0,1] neg_hi:[0,0,1]
	v_pk_fma_f32 v[26:27], v[10:11], v[34:35], v[26:27]
	v_add_u32_e32 v5, 0x1000, v5
	s_or_b64 s[38:39], vcc, s[38:39]
	s_waitcnt vmcnt(0)
	v_mov_b32_e32 v34, v36
	v_mov_b32_e32 v35, v32
	v_mov_b32_e32 v32, v37
	v_pk_add_f32 v[24:25], v[34:35], v[24:25]
	v_pk_add_f32 v[26:27], v[26:27], v[32:33]
	v_mov_b32_e32 v32, v24
	v_mov_b32_e32 v33, v26
	;; [unrolled: 1-line block ×3, first 2 shown]
	flat_store_dwordx2 v[28:29], v[32:33]
	flat_store_dwordx2 v[30:31], v[26:27]
	s_andn2_b64 exec, exec, s[38:39]
	s_cbranch_execnz .LBB12_30
.LBB12_31:                              ;   in Loop: Header=BB12_6 Depth=1
	s_or_b64 exec, exec, s[36:37]
	s_mov_b64 s[36:37], 0
                                        ; implicit-def: $vgpr5
	s_and_saveexec_b64 s[38:39], s[12:13]
	s_xor_b64 s[38:39], exec, s[38:39]
; %bb.32:                               ;   in Loop: Header=BB12_6 Depth=1
	s_mov_b64 s[36:37], exec
	v_lshlrev_b32_e32 v5, 3, v16
; %bb.33:                               ;   in Loop: Header=BB12_6 Depth=1
	s_or_b64 exec, exec, s[38:39]
	s_and_b64 s[36:37], s[36:37], exec
	s_or_saveexec_b64 s[34:35], s[34:35]
	v_mov_b32_e32 v12, v16
	s_xor_b64 exec, exec, s[34:35]
	s_cbranch_execz .LBB12_23
.LBB12_34:                              ;   in Loop: Header=BB12_6 Depth=1
	s_or_b64 s[36:37], s[36:37], exec
	v_mov_b32_e32 v12, v0
	v_mov_b32_e32 v5, v2
	s_or_b64 exec, exec, s[34:35]
	s_and_b64 exec, exec, s[36:37]
	s_cbranch_execz .LBB12_5
.LBB12_35:                              ;   in Loop: Header=BB12_6 Depth=1
	s_add_u32 s28, s0, s28
	v_ashrrev_i32_e32 v13, 31, v12
	s_addc_u32 s29, s1, s29
	v_mov_b32_e32 v11, v10
	v_mov_b32_e32 v9, v8
	v_lshl_add_u64 v[14:15], v[12:13], 3, s[28:29]
	s_mov_b64 s[28:29], 0
.LBB12_36:                              ;   Parent Loop BB12_6 Depth=1
                                        ; =>  This Inner Loop Header: Depth=2
	flat_load_dwordx2 v[24:25], v[14:15]
	ds_read_b64 v[26:27], v5
	v_add_u32_e32 v12, 0x100, v12
	v_cmp_le_i32_e32 vcc, s18, v12
	s_or_b64 s[28:29], vcc, s[28:29]
	v_add_u32_e32 v5, 0x800, v5
	s_waitcnt lgkmcnt(0)
	v_pk_mul_f32 v[28:29], v[10:11], v[26:27] op_sel:[0,1] op_sel_hi:[1,0]
	s_nop 0
	v_pk_fma_f32 v[30:31], v[8:9], v[26:27], v[28:29] neg_lo:[0,0,1] neg_hi:[0,0,1]
	v_pk_fma_f32 v[26:27], v[8:9], v[26:27], v[28:29]
	s_nop 0
	v_mov_b32_e32 v31, v27
	s_waitcnt vmcnt(0)
	v_pk_add_f32 v[24:25], v[24:25], v[30:31]
	flat_store_dwordx2 v[14:15], v[24:25]
	v_lshl_add_u64 v[14:15], v[14:15], 0, s[26:27]
	s_andn2_b64 exec, exec, s[28:29]
	s_cbranch_execnz .LBB12_36
	s_branch .LBB12_5
.LBB12_37:
	s_endpgm
	.section	.rodata,"a",@progbits
	.p2align	6, 0x0
	.amdhsa_kernel _ZN9rocsolver6v33100L22larf_left_kernel_smallILi256E19rocblas_complex_numIfEiPKPS3_EEvT1_S7_T2_lS7_lPKT0_lS8_lS7_l
		.amdhsa_group_segment_fixed_size 18432
		.amdhsa_private_segment_fixed_size 0
		.amdhsa_kernarg_size 88
		.amdhsa_user_sgpr_count 2
		.amdhsa_user_sgpr_dispatch_ptr 0
		.amdhsa_user_sgpr_queue_ptr 0
		.amdhsa_user_sgpr_kernarg_segment_ptr 1
		.amdhsa_user_sgpr_dispatch_id 0
		.amdhsa_user_sgpr_kernarg_preload_length 0
		.amdhsa_user_sgpr_kernarg_preload_offset 0
		.amdhsa_user_sgpr_private_segment_size 0
		.amdhsa_uses_dynamic_stack 0
		.amdhsa_enable_private_segment 0
		.amdhsa_system_sgpr_workgroup_id_x 1
		.amdhsa_system_sgpr_workgroup_id_y 1
		.amdhsa_system_sgpr_workgroup_id_z 0
		.amdhsa_system_sgpr_workgroup_info 0
		.amdhsa_system_vgpr_workitem_id 0
		.amdhsa_next_free_vgpr 42
		.amdhsa_next_free_sgpr 47
		.amdhsa_accum_offset 44
		.amdhsa_reserve_vcc 1
		.amdhsa_float_round_mode_32 0
		.amdhsa_float_round_mode_16_64 0
		.amdhsa_float_denorm_mode_32 3
		.amdhsa_float_denorm_mode_16_64 3
		.amdhsa_dx10_clamp 1
		.amdhsa_ieee_mode 1
		.amdhsa_fp16_overflow 0
		.amdhsa_tg_split 0
		.amdhsa_exception_fp_ieee_invalid_op 0
		.amdhsa_exception_fp_denorm_src 0
		.amdhsa_exception_fp_ieee_div_zero 0
		.amdhsa_exception_fp_ieee_overflow 0
		.amdhsa_exception_fp_ieee_underflow 0
		.amdhsa_exception_fp_ieee_inexact 0
		.amdhsa_exception_int_div_zero 0
	.end_amdhsa_kernel
	.section	.text._ZN9rocsolver6v33100L22larf_left_kernel_smallILi256E19rocblas_complex_numIfEiPKPS3_EEvT1_S7_T2_lS7_lPKT0_lS8_lS7_l,"axG",@progbits,_ZN9rocsolver6v33100L22larf_left_kernel_smallILi256E19rocblas_complex_numIfEiPKPS3_EEvT1_S7_T2_lS7_lPKT0_lS8_lS7_l,comdat
.Lfunc_end12:
	.size	_ZN9rocsolver6v33100L22larf_left_kernel_smallILi256E19rocblas_complex_numIfEiPKPS3_EEvT1_S7_T2_lS7_lPKT0_lS8_lS7_l, .Lfunc_end12-_ZN9rocsolver6v33100L22larf_left_kernel_smallILi256E19rocblas_complex_numIfEiPKPS3_EEvT1_S7_T2_lS7_lPKT0_lS8_lS7_l
                                        ; -- End function
	.set _ZN9rocsolver6v33100L22larf_left_kernel_smallILi256E19rocblas_complex_numIfEiPKPS3_EEvT1_S7_T2_lS7_lPKT0_lS8_lS7_l.num_vgpr, 42
	.set _ZN9rocsolver6v33100L22larf_left_kernel_smallILi256E19rocblas_complex_numIfEiPKPS3_EEvT1_S7_T2_lS7_lPKT0_lS8_lS7_l.num_agpr, 0
	.set _ZN9rocsolver6v33100L22larf_left_kernel_smallILi256E19rocblas_complex_numIfEiPKPS3_EEvT1_S7_T2_lS7_lPKT0_lS8_lS7_l.numbered_sgpr, 47
	.set _ZN9rocsolver6v33100L22larf_left_kernel_smallILi256E19rocblas_complex_numIfEiPKPS3_EEvT1_S7_T2_lS7_lPKT0_lS8_lS7_l.num_named_barrier, 0
	.set _ZN9rocsolver6v33100L22larf_left_kernel_smallILi256E19rocblas_complex_numIfEiPKPS3_EEvT1_S7_T2_lS7_lPKT0_lS8_lS7_l.private_seg_size, 0
	.set _ZN9rocsolver6v33100L22larf_left_kernel_smallILi256E19rocblas_complex_numIfEiPKPS3_EEvT1_S7_T2_lS7_lPKT0_lS8_lS7_l.uses_vcc, 1
	.set _ZN9rocsolver6v33100L22larf_left_kernel_smallILi256E19rocblas_complex_numIfEiPKPS3_EEvT1_S7_T2_lS7_lPKT0_lS8_lS7_l.uses_flat_scratch, 0
	.set _ZN9rocsolver6v33100L22larf_left_kernel_smallILi256E19rocblas_complex_numIfEiPKPS3_EEvT1_S7_T2_lS7_lPKT0_lS8_lS7_l.has_dyn_sized_stack, 0
	.set _ZN9rocsolver6v33100L22larf_left_kernel_smallILi256E19rocblas_complex_numIfEiPKPS3_EEvT1_S7_T2_lS7_lPKT0_lS8_lS7_l.has_recursion, 0
	.set _ZN9rocsolver6v33100L22larf_left_kernel_smallILi256E19rocblas_complex_numIfEiPKPS3_EEvT1_S7_T2_lS7_lPKT0_lS8_lS7_l.has_indirect_call, 0
	.section	.AMDGPU.csdata,"",@progbits
; Kernel info:
; codeLenInByte = 2512
; TotalNumSgprs: 53
; NumVgprs: 42
; NumAgprs: 0
; TotalNumVgprs: 42
; ScratchSize: 0
; MemoryBound: 0
; FloatMode: 240
; IeeeMode: 1
; LDSByteSize: 18432 bytes/workgroup (compile time only)
; SGPRBlocks: 6
; VGPRBlocks: 5
; NumSGPRsForWavesPerEU: 53
; NumVGPRsForWavesPerEU: 42
; AccumOffset: 44
; Occupancy: 8
; WaveLimiterHint : 1
; COMPUTE_PGM_RSRC2:SCRATCH_EN: 0
; COMPUTE_PGM_RSRC2:USER_SGPR: 2
; COMPUTE_PGM_RSRC2:TRAP_HANDLER: 0
; COMPUTE_PGM_RSRC2:TGID_X_EN: 1
; COMPUTE_PGM_RSRC2:TGID_Y_EN: 1
; COMPUTE_PGM_RSRC2:TGID_Z_EN: 0
; COMPUTE_PGM_RSRC2:TIDIG_COMP_CNT: 0
; COMPUTE_PGM_RSRC3_GFX90A:ACCUM_OFFSET: 10
; COMPUTE_PGM_RSRC3_GFX90A:TG_SPLIT: 0
	.section	.text._ZN9rocsolver6v33100L22larf_left_kernel_smallILi512E19rocblas_complex_numIfEiPKPS3_EEvT1_S7_T2_lS7_lPKT0_lS8_lS7_l,"axG",@progbits,_ZN9rocsolver6v33100L22larf_left_kernel_smallILi512E19rocblas_complex_numIfEiPKPS3_EEvT1_S7_T2_lS7_lPKT0_lS8_lS7_l,comdat
	.globl	_ZN9rocsolver6v33100L22larf_left_kernel_smallILi512E19rocblas_complex_numIfEiPKPS3_EEvT1_S7_T2_lS7_lPKT0_lS8_lS7_l ; -- Begin function _ZN9rocsolver6v33100L22larf_left_kernel_smallILi512E19rocblas_complex_numIfEiPKPS3_EEvT1_S7_T2_lS7_lPKT0_lS8_lS7_l
	.p2align	8
	.type	_ZN9rocsolver6v33100L22larf_left_kernel_smallILi512E19rocblas_complex_numIfEiPKPS3_EEvT1_S7_T2_lS7_lPKT0_lS8_lS7_l,@function
_ZN9rocsolver6v33100L22larf_left_kernel_smallILi512E19rocblas_complex_numIfEiPKPS3_EEvT1_S7_T2_lS7_lPKT0_lS8_lS7_l: ; @_ZN9rocsolver6v33100L22larf_left_kernel_smallILi512E19rocblas_complex_numIfEiPKPS3_EEvT1_S7_T2_lS7_lPKT0_lS8_lS7_l
; %bb.0:
	s_load_dwordx8 s[4:11], s[0:1], 0x28
	s_load_dwordx2 s[18:19], s[0:1], 0x0
	s_mov_b32 s16, s3
	s_ashr_i32 s3, s2, 31
	s_lshl_b64 s[20:21], s[2:3], 3
	s_waitcnt lgkmcnt(0)
	s_add_u32 s8, s8, s20
	s_addc_u32 s9, s9, s21
	s_load_dwordx2 s[8:9], s[8:9], 0x0
	v_cmp_gt_i32_e64 s[14:15], s18, v0
	v_lshlrev_b32_e32 v2, 3, v0
	s_and_saveexec_b64 s[12:13], s[14:15]
	s_cbranch_execz .LBB13_3
; %bb.1:
	s_load_dwordx4 s[24:27], s[0:1], 0x8
	s_load_dword s17, s[0:1], 0x18
	v_lshlrev_b32_e32 v1, 3, v0
	s_waitcnt lgkmcnt(0)
	s_add_u32 s20, s24, s20
	s_addc_u32 s21, s25, s21
	s_load_dwordx2 s[22:23], s[20:21], 0x0
	s_lshl_b64 s[24:25], s[26:27], 3
	v_mul_lo_u32 v3, v0, s17
	s_mov_b64 s[20:21], 0
	s_waitcnt lgkmcnt(0)
	s_add_u32 s22, s22, s24
	s_addc_u32 s23, s23, s25
	s_sub_i32 s24, 1, s18
	s_mul_i32 s24, s17, s24
	s_cmp_lt_i32 s17, 1
	s_cselect_b32 s24, s24, 0
	s_lshl_b32 s17, s17, 9
	v_add_u32_e32 v4, s24, v3
	v_mov_b32_e32 v3, v0
.LBB13_2:                               ; =>This Inner Loop Header: Depth=1
	v_ashrrev_i32_e32 v5, 31, v4
	v_lshl_add_u64 v[6:7], v[4:5], 3, s[22:23]
	flat_load_dwordx2 v[6:7], v[6:7]
	v_add_u32_e32 v3, 0x200, v3
	v_cmp_le_i32_e32 vcc, s18, v3
	v_add_u32_e32 v4, s17, v4
	s_or_b64 s[20:21], vcc, s[20:21]
	s_waitcnt vmcnt(0) lgkmcnt(0)
	ds_write_b64 v1, v[6:7]
	v_add_u32_e32 v1, 0x1000, v1
	s_andn2_b64 exec, exec, s[20:21]
	s_cbranch_execnz .LBB13_2
.LBB13_3:
	s_or_b64 exec, exec, s[12:13]
	s_cmp_ge_i32 s16, s19
	s_waitcnt lgkmcnt(0)
	s_barrier
	s_cbranch_scc1 .LBB13_37
; %bb.4:
	s_load_dword s17, s[0:1], 0x48
	s_lshl_b64 s[0:1], s[10:11], 3
	s_add_u32 s0, s8, s0
	s_mul_i32 s3, s6, s3
	s_mul_hi_u32 s8, s6, s2
	s_addc_u32 s1, s9, s1
	s_add_i32 s3, s8, s3
	s_mul_i32 s7, s7, s2
	s_add_i32 s3, s3, s7
	s_mul_i32 s2, s6, s2
	s_lshl_b64 s[2:3], s[2:3], 3
	s_add_u32 s20, s4, s2
	v_and_b32_e32 v1, 63, v0
	s_addc_u32 s21, s5, s3
	v_cmp_eq_u32_e64 s[2:3], 0, v1
	v_xad_u32 v1, v0, -1, s18
	v_lshrrev_b32_e32 v3, 9, v1
	v_add_u32_e32 v4, 1, v3
	v_add_u32_e32 v3, -1, v3
	v_and_b32_e32 v7, 0xfffffe, v4
	v_lshrrev_b32_e32 v6, 1, v3
	v_cmp_ne_u32_e64 s[12:13], v4, v7
	v_mov_b32_e32 v4, 0
	v_add_u32_e32 v6, 1, v6
	v_cmp_lt_u32_e64 s[8:9], 5, v3
	v_mov_b32_e32 v3, v4
	v_lshrrev_b32_e32 v5, 3, v0
	v_lshl_or_b32 v16, v7, 9, v0
	v_and_b32_e32 v17, 3, v6
	v_and_b32_e32 v18, -4, v6
	v_lshl_add_u64 v[6:7], s[0:1], 0, v[2:3]
	v_mbcnt_lo_u32_b32 v3, -1, 0
	s_cmp_gt_i32 s18, 1
	s_movk_i32 s6, 0x1ff
	v_mbcnt_hi_u32_b32 v3, -1, v3
	v_or_b32_e32 v20, 0x4000, v5
	v_mov_b32_e32 v5, 0x80
	s_cselect_b64 s[22:23], -1, 0
	v_cmp_eq_u32_e64 s[4:5], 0, v0
	v_cmp_lt_u32_e64 s[6:7], s6, v1
	v_or_b32_e32 v1, 0x200, v0
	v_cmp_ne_u32_e64 s[10:11], 0, v17
	s_waitcnt lgkmcnt(0)
	s_mul_i32 s24, s16, s17
	s_lshl_b32 s33, s17, 6
	s_mov_b64 s[26:27], 0x1000
	v_and_b32_e32 v19, 63, v3
	v_mov_b32_e32 v21, 0x4008
	v_mov_b32_e32 v22, 0x4018
	;; [unrolled: 1-line block ×3, first 2 shown]
	v_lshl_or_b32 v24, v3, 2, v5
	s_branch .LBB13_6
.LBB13_5:                               ;   in Loop: Header=BB13_6 Depth=1
	s_or_b64 exec, exec, s[30:31]
	s_add_i32 s16, s16, 64
	s_add_i32 s24, s24, s33
	s_cmp_ge_i32 s16, s19
	s_cbranch_scc1 .LBB13_37
.LBB13_6:                               ; =>This Loop Header: Depth=1
                                        ;     Child Loop BB13_8 Depth 2
                                        ;     Child Loop BB13_26 Depth 2
	;; [unrolled: 1-line block ×4, first 2 shown]
	s_ashr_i32 s25, s24, 31
	v_mov_b32_e32 v5, v4
	s_lshl_b64 s[28:29], s[24:25], 3
	v_mov_b64_e32 v[8:9], v[4:5]
	s_and_saveexec_b64 s[30:31], s[14:15]
	s_cbranch_execz .LBB13_10
; %bb.7:                                ;   in Loop: Header=BB13_6 Depth=1
	v_mov_b32_e32 v8, 0
	v_lshl_add_u64 v[10:11], v[6:7], 0, s[28:29]
	s_mov_b64 s[34:35], 0
	v_mov_b32_e32 v5, v2
	v_mov_b32_e32 v12, v0
	;; [unrolled: 1-line block ×3, first 2 shown]
.LBB13_8:                               ;   Parent Loop BB13_6 Depth=1
                                        ; =>  This Inner Loop Header: Depth=2
	flat_load_dwordx2 v[14:15], v[10:11]
	ds_read_b64 v[26:27], v5
	v_add_u32_e32 v12, 0x200, v12
	v_cmp_le_i32_e32 vcc, s18, v12
	v_add_u32_e32 v5, 0x1000, v5
	v_lshl_add_u64 v[10:11], v[10:11], 0, s[26:27]
	s_waitcnt lgkmcnt(0)
	v_mov_b32_e32 v28, v27
	s_or_b64 s[34:35], vcc, s[34:35]
	s_waitcnt vmcnt(0)
	v_pk_mul_f32 v[30:31], v[14:15], v[26:27] op_sel_hi:[1,0]
	s_nop 0
	v_pk_fma_f32 v[28:29], v[14:15], v[28:29], v[30:31] op_sel:[1,0,0] op_sel_hi:[0,1,1]
	v_pk_fma_f32 v[14:15], v[14:15], v[26:27], v[30:31] op_sel:[1,1,0] op_sel_hi:[0,1,1] neg_lo:[0,0,1] neg_hi:[0,0,1]
	v_mov_b32_e32 v29, v15
	v_pk_add_f32 v[8:9], v[8:9], v[28:29]
	s_andn2_b64 exec, exec, s[34:35]
	s_cbranch_execnz .LBB13_8
; %bb.9:                                ;   in Loop: Header=BB13_6 Depth=1
	s_or_b64 exec, exec, s[34:35]
.LBB13_10:                              ;   in Loop: Header=BB13_6 Depth=1
	s_or_b64 exec, exec, s[30:31]
	s_and_b64 vcc, exec, s[22:23]
	s_cbranch_vccz .LBB13_17
; %bb.11:                               ;   in Loop: Header=BB13_6 Depth=1
	v_cmp_ne_u32_e32 vcc, 63, v19
	s_nop 1
	v_addc_co_u32_e32 v5, vcc, 0, v3, vcc
	v_lshlrev_b32_e32 v5, 2, v5
	ds_bpermute_b32 v10, v5, v8
	ds_bpermute_b32 v11, v5, v9
	v_cmp_gt_u32_e32 vcc, 62, v19
	s_waitcnt lgkmcnt(0)
	v_pk_add_f32 v[10:11], v[8:9], v[10:11]
	v_cndmask_b32_e64 v5, 0, 2, vcc
	v_add_lshl_u32 v5, v5, v3, 2
	ds_bpermute_b32 v12, v5, v10
	ds_bpermute_b32 v13, v5, v11
	v_cmp_gt_u32_e32 vcc, 60, v19
	s_waitcnt lgkmcnt(0)
	v_pk_add_f32 v[10:11], v[10:11], v[12:13]
	v_cndmask_b32_e64 v5, 0, 4, vcc
	v_add_lshl_u32 v5, v5, v3, 2
	;; [unrolled: 7-line block ×4, first 2 shown]
	ds_bpermute_b32 v12, v5, v10
	ds_bpermute_b32 v13, v5, v11
	s_waitcnt lgkmcnt(0)
	v_pk_add_f32 v[10:11], v[10:11], v[12:13]
	ds_bpermute_b32 v12, v24, v10
	ds_bpermute_b32 v13, v24, v11
	s_waitcnt lgkmcnt(0)
	v_pk_add_f32 v[10:11], v[10:11], v[12:13]
	s_and_saveexec_b64 s[30:31], s[2:3]
; %bb.12:                               ;   in Loop: Header=BB13_6 Depth=1
	ds_write2_b32 v20, v10, v11 offset1:1
; %bb.13:                               ;   in Loop: Header=BB13_6 Depth=1
	s_or_b64 exec, exec, s[30:31]
	s_mov_b64 s[34:35], 0
	s_mov_b64 s[30:31], 0
	s_waitcnt lgkmcnt(0)
	s_barrier
                                        ; implicit-def: $vgpr12_vgpr13
	s_and_saveexec_b64 s[36:37], s[4:5]
	s_xor_b64 s[36:37], exec, s[36:37]
	s_cbranch_execz .LBB13_15
; %bb.14:                               ;   in Loop: Header=BB13_6 Depth=1
	ds_read2_b64 v[12:15], v21 offset1:1
	ds_read2_b64 v[26:29], v22 offset1:1
	;; [unrolled: 1-line block ×3, first 2 shown]
	ds_read_b64 v[34:35], v4 offset:16440
	s_mov_b64 s[30:31], exec
	s_waitcnt lgkmcnt(0)
	v_pk_add_f32 v[10:11], v[10:11], v[12:13]
	s_nop 0
	v_pk_add_f32 v[10:11], v[10:11], v[14:15]
	s_waitcnt lgkmcnt(2)
	v_pk_add_f32 v[10:11], v[10:11], v[26:27]
	s_nop 0
	v_pk_add_f32 v[10:11], v[10:11], v[28:29]
	;; [unrolled: 4-line block ×3, first 2 shown]
	s_waitcnt lgkmcnt(0)
	v_pk_add_f32 v[12:13], v[10:11], v[34:35]
.LBB13_15:                              ;   in Loop: Header=BB13_6 Depth=1
	s_or_b64 exec, exec, s[36:37]
	s_and_b64 vcc, exec, s[34:35]
	s_cbranch_vccnz .LBB13_18
.LBB13_16:                              ;   in Loop: Header=BB13_6 Depth=1
	v_mov_b64_e32 v[8:9], v[12:13]
	s_and_saveexec_b64 s[34:35], s[30:31]
	s_cbranch_execnz .LBB13_19
	s_branch .LBB13_20
.LBB13_17:                              ;   in Loop: Header=BB13_6 Depth=1
	s_mov_b64 s[30:31], 0
                                        ; implicit-def: $vgpr12_vgpr13
	s_cbranch_execz .LBB13_16
.LBB13_18:                              ;   in Loop: Header=BB13_6 Depth=1
	s_andn2_b64 s[30:31], s[30:31], exec
	s_and_b64 s[34:35], s[4:5], exec
	s_or_b64 s[30:31], s[30:31], s[34:35]
	s_and_saveexec_b64 s[34:35], s[30:31]
.LBB13_19:                              ;   in Loop: Header=BB13_6 Depth=1
	ds_write_b64 v4, v[8:9] offset:16384
.LBB13_20:                              ;   in Loop: Header=BB13_6 Depth=1
	s_or_b64 exec, exec, s[34:35]
	s_waitcnt lgkmcnt(0)
	s_barrier
	s_and_saveexec_b64 s[30:31], s[14:15]
	s_cbranch_execz .LBB13_5
; %bb.21:                               ;   in Loop: Header=BB13_6 Depth=1
	global_load_dwordx2 v[10:11], v4, s[20:21]
	ds_read_b64 v[8:9], v4 offset:16384
	s_mov_b64 s[36:37], 0
	s_waitcnt vmcnt(0) lgkmcnt(0)
	v_mul_f32_e32 v5, v11, v9
	v_mul_f32_e32 v11, v11, v8
	v_fma_f32 v8, v8, -v10, -v5
	v_fma_f32 v10, v10, v9, -v11
                                        ; implicit-def: $vgpr5
	s_and_saveexec_b64 s[34:35], s[6:7]
	s_xor_b64 s[34:35], exec, s[34:35]
	s_cbranch_execnz .LBB13_24
; %bb.22:                               ;   in Loop: Header=BB13_6 Depth=1
	s_or_saveexec_b64 s[34:35], s[34:35]
	v_mov_b32_e32 v12, v16
	s_xor_b64 exec, exec, s[34:35]
	s_cbranch_execnz .LBB13_34
.LBB13_23:                              ;   in Loop: Header=BB13_6 Depth=1
	s_or_b64 exec, exec, s[34:35]
	s_and_b64 exec, exec, s[36:37]
	s_cbranch_execz .LBB13_5
	s_branch .LBB13_35
.LBB13_24:                              ;   in Loop: Header=BB13_6 Depth=1
	s_mul_i32 s25, s16, s17
	v_mov_b32_e32 v9, v8
	v_mov_b32_e32 v11, v10
	;; [unrolled: 1-line block ×3, first 2 shown]
	v_mov_b64_e32 v[12:13], v[0:1]
	s_and_saveexec_b64 s[36:37], s[8:9]
	s_cbranch_execz .LBB13_28
; %bb.25:                               ;   in Loop: Header=BB13_6 Depth=1
	s_add_i32 s40, s25, 0x400
	s_add_i32 s42, s25, 0x800
	;; [unrolled: 1-line block ×3, first 2 shown]
	s_mov_b32 s41, s40
	s_mov_b32 s43, s42
	;; [unrolled: 1-line block ×4, first 2 shown]
	s_mov_b64 s[38:39], 0
	v_mov_b32_e32 v5, v18
	v_mov_b32_e32 v14, v2
	v_mov_b64_e32 v[12:13], v[0:1]
.LBB13_26:                              ;   Parent Loop BB13_6 Depth=1
                                        ; =>  This Inner Loop Header: Depth=2
	v_add_u32_e32 v26, s25, v12
	v_add_u32_e32 v28, s25, v13
	v_ashrrev_i32_e32 v27, 31, v26
	v_ashrrev_i32_e32 v29, 31, v28
	v_lshl_add_u64 v[30:31], v[26:27], 3, s[0:1]
	v_lshl_add_u64 v[32:33], v[28:29], 3, s[0:1]
	flat_load_dwordx2 v[34:35], v[30:31]
	flat_load_dwordx2 v[36:37], v[32:33]
	ds_read2st64_b64 v[26:29], v14 offset1:8
	v_add_u32_e32 v38, s40, v12
	v_add_u32_e32 v40, s41, v13
	v_ashrrev_i32_e32 v39, 31, v38
	v_ashrrev_i32_e32 v41, 31, v40
	s_waitcnt lgkmcnt(0)
	v_mov_b32_e32 v43, v28
	v_mov_b32_e32 v28, v27
	;; [unrolled: 1-line block ×3, first 2 shown]
	v_pk_mul_f32 v[26:27], v[10:11], v[28:29]
	v_pk_mul_f32 v[28:29], v[8:9], v[28:29]
	v_pk_fma_f32 v[26:27], v[8:9], v[42:43], v[26:27] neg_lo:[0,0,1] neg_hi:[0,0,1]
	v_pk_fma_f32 v[28:29], v[10:11], v[42:43], v[28:29]
	v_lshl_add_u64 v[38:39], v[38:39], 3, s[0:1]
	v_lshl_add_u64 v[40:41], v[40:41], 3, s[0:1]
	v_add_u32_e32 v5, -4, v5
	s_add_i32 s46, s46, 8
	v_cmp_eq_u32_e32 vcc, 0, v5
	v_mov_b32_e32 v15, s46
	s_or_b64 s[38:39], vcc, s[38:39]
	s_waitcnt vmcnt(0)
	v_mov_b32_e32 v42, v34
	v_mov_b32_e32 v43, v36
	;; [unrolled: 1-line block ×3, first 2 shown]
	v_pk_add_f32 v[26:27], v[42:43], v[26:27]
	v_pk_add_f32 v[28:29], v[28:29], v[36:37]
	v_mov_b32_e32 v34, v26
	v_mov_b32_e32 v35, v28
	v_mov_b32_e32 v28, v27
	flat_store_dwordx2 v[30:31], v[34:35]
	flat_store_dwordx2 v[32:33], v[28:29]
	flat_load_dwordx2 v[30:31], v[38:39]
	s_nop 0
	flat_load_dwordx2 v[32:33], v[40:41]
	v_add_u32_e32 v26, s42, v12
	v_add_u32_e32 v28, s43, v13
	v_ashrrev_i32_e32 v29, 31, v28
	v_ashrrev_i32_e32 v27, 31, v26
	v_lshl_add_u64 v[34:35], v[26:27], 3, s[0:1]
	v_lshl_add_u64 v[36:37], v[28:29], 3, s[0:1]
	ds_read2st64_b64 v[26:29], v14 offset0:16 offset1:24
	s_waitcnt lgkmcnt(0)
	v_mov_b32_e32 v43, v28
	v_mov_b32_e32 v28, v27
	;; [unrolled: 1-line block ×3, first 2 shown]
	v_pk_mul_f32 v[26:27], v[10:11], v[28:29]
	v_pk_mul_f32 v[28:29], v[8:9], v[28:29]
	v_pk_fma_f32 v[26:27], v[8:9], v[42:43], v[26:27] neg_lo:[0,0,1] neg_hi:[0,0,1]
	v_pk_fma_f32 v[28:29], v[10:11], v[42:43], v[28:29]
	s_waitcnt vmcnt(0)
	v_mov_b32_e32 v42, v30
	v_mov_b32_e32 v43, v32
	;; [unrolled: 1-line block ×3, first 2 shown]
	v_pk_add_f32 v[26:27], v[42:43], v[26:27]
	v_pk_add_f32 v[28:29], v[28:29], v[32:33]
	v_mov_b32_e32 v30, v26
	v_mov_b32_e32 v31, v28
	;; [unrolled: 1-line block ×3, first 2 shown]
	flat_store_dwordx2 v[38:39], v[30:31]
	flat_store_dwordx2 v[40:41], v[28:29]
	flat_load_dwordx2 v[30:31], v[34:35]
	s_nop 0
	flat_load_dwordx2 v[32:33], v[36:37]
	v_add_u32_e32 v26, s44, v12
	v_add_u32_e32 v28, s45, v13
	v_ashrrev_i32_e32 v29, 31, v28
	v_ashrrev_i32_e32 v27, 31, v26
	v_lshl_add_u64 v[38:39], v[26:27], 3, s[0:1]
	v_lshl_add_u64 v[40:41], v[28:29], 3, s[0:1]
	ds_read2st64_b64 v[26:29], v14 offset0:32 offset1:40
	v_add_u32_e32 v13, 0x1000, v13
	v_add_u32_e32 v12, 0x1000, v12
	s_waitcnt lgkmcnt(0)
	v_mov_b32_e32 v43, v28
	v_mov_b32_e32 v28, v27
	;; [unrolled: 1-line block ×3, first 2 shown]
	v_pk_mul_f32 v[26:27], v[10:11], v[28:29]
	v_pk_mul_f32 v[28:29], v[8:9], v[28:29]
	v_pk_fma_f32 v[26:27], v[8:9], v[42:43], v[26:27] neg_lo:[0,0,1] neg_hi:[0,0,1]
	v_pk_fma_f32 v[28:29], v[10:11], v[42:43], v[28:29]
	s_waitcnt vmcnt(0)
	v_mov_b32_e32 v42, v30
	v_mov_b32_e32 v43, v32
	;; [unrolled: 1-line block ×3, first 2 shown]
	v_pk_add_f32 v[26:27], v[42:43], v[26:27]
	v_pk_add_f32 v[28:29], v[28:29], v[32:33]
	v_mov_b32_e32 v30, v26
	v_mov_b32_e32 v31, v28
	;; [unrolled: 1-line block ×3, first 2 shown]
	flat_store_dwordx2 v[34:35], v[30:31]
	flat_store_dwordx2 v[36:37], v[28:29]
	flat_load_dwordx2 v[30:31], v[38:39]
	s_nop 0
	flat_load_dwordx2 v[32:33], v[40:41]
	ds_read2st64_b64 v[26:29], v14 offset0:48 offset1:56
	v_add_u32_e32 v14, 0x8000, v14
	s_waitcnt lgkmcnt(0)
	v_mov_b32_e32 v35, v28
	v_mov_b32_e32 v28, v27
	;; [unrolled: 1-line block ×3, first 2 shown]
	v_pk_mul_f32 v[26:27], v[10:11], v[28:29]
	v_pk_mul_f32 v[28:29], v[8:9], v[28:29]
	v_pk_fma_f32 v[26:27], v[8:9], v[34:35], v[26:27] neg_lo:[0,0,1] neg_hi:[0,0,1]
	v_pk_fma_f32 v[28:29], v[10:11], v[34:35], v[28:29]
	s_waitcnt vmcnt(0)
	v_mov_b32_e32 v34, v30
	v_mov_b32_e32 v35, v32
	;; [unrolled: 1-line block ×3, first 2 shown]
	v_pk_add_f32 v[26:27], v[34:35], v[26:27]
	v_pk_add_f32 v[28:29], v[28:29], v[32:33]
	v_mov_b32_e32 v30, v26
	v_mov_b32_e32 v31, v28
	;; [unrolled: 1-line block ×3, first 2 shown]
	flat_store_dwordx2 v[38:39], v[30:31]
	flat_store_dwordx2 v[40:41], v[28:29]
	s_andn2_b64 exec, exec, s[38:39]
	s_cbranch_execnz .LBB13_26
; %bb.27:                               ;   in Loop: Header=BB13_6 Depth=1
	s_or_b64 exec, exec, s[38:39]
.LBB13_28:                              ;   in Loop: Header=BB13_6 Depth=1
	s_or_b64 exec, exec, s[36:37]
	s_and_saveexec_b64 s[36:37], s[10:11]
	s_cbranch_execz .LBB13_31
; %bb.29:                               ;   in Loop: Header=BB13_6 Depth=1
	v_lshl_or_b32 v5, v15, 12, v2
	s_mov_b64 s[38:39], 0
	v_mov_b32_e32 v14, v17
.LBB13_30:                              ;   Parent Loop BB13_6 Depth=1
                                        ; =>  This Inner Loop Header: Depth=2
	v_add_u32_e32 v26, s25, v12
	v_add_u32_e32 v28, s25, v13
	v_ashrrev_i32_e32 v27, 31, v26
	v_ashrrev_i32_e32 v29, 31, v28
	v_lshl_add_u64 v[30:31], v[26:27], 3, s[0:1]
	v_lshl_add_u64 v[32:33], v[28:29], 3, s[0:1]
	flat_load_dwordx2 v[34:35], v[30:31]
	flat_load_dwordx2 v[36:37], v[32:33]
	ds_read2st64_b64 v[26:29], v5 offset1:8
	v_add_u32_e32 v14, -1, v14
	v_cmp_eq_u32_e32 vcc, 0, v14
	v_add_u32_e32 v13, 0x400, v13
	v_add_u32_e32 v12, 0x400, v12
	s_waitcnt lgkmcnt(0)
	v_mov_b32_e32 v39, v28
	v_mov_b32_e32 v28, v27
	;; [unrolled: 1-line block ×3, first 2 shown]
	v_pk_mul_f32 v[26:27], v[10:11], v[28:29]
	v_pk_mul_f32 v[28:29], v[8:9], v[28:29]
	v_pk_fma_f32 v[26:27], v[8:9], v[38:39], v[26:27] neg_lo:[0,0,1] neg_hi:[0,0,1]
	v_pk_fma_f32 v[28:29], v[10:11], v[38:39], v[28:29]
	v_add_u32_e32 v5, 0x2000, v5
	s_or_b64 s[38:39], vcc, s[38:39]
	s_waitcnt vmcnt(0)
	v_mov_b32_e32 v38, v34
	v_mov_b32_e32 v39, v36
	;; [unrolled: 1-line block ×3, first 2 shown]
	v_pk_add_f32 v[26:27], v[38:39], v[26:27]
	v_pk_add_f32 v[28:29], v[28:29], v[36:37]
	v_mov_b32_e32 v34, v26
	v_mov_b32_e32 v35, v28
	;; [unrolled: 1-line block ×3, first 2 shown]
	flat_store_dwordx2 v[30:31], v[34:35]
	flat_store_dwordx2 v[32:33], v[28:29]
	s_andn2_b64 exec, exec, s[38:39]
	s_cbranch_execnz .LBB13_30
.LBB13_31:                              ;   in Loop: Header=BB13_6 Depth=1
	s_or_b64 exec, exec, s[36:37]
	s_mov_b64 s[36:37], 0
                                        ; implicit-def: $vgpr5
	s_and_saveexec_b64 s[38:39], s[12:13]
	s_xor_b64 s[38:39], exec, s[38:39]
; %bb.32:                               ;   in Loop: Header=BB13_6 Depth=1
	s_mov_b64 s[36:37], exec
	v_lshlrev_b32_e32 v5, 3, v16
; %bb.33:                               ;   in Loop: Header=BB13_6 Depth=1
	s_or_b64 exec, exec, s[38:39]
	s_and_b64 s[36:37], s[36:37], exec
	s_or_saveexec_b64 s[34:35], s[34:35]
	v_mov_b32_e32 v12, v16
	s_xor_b64 exec, exec, s[34:35]
	s_cbranch_execz .LBB13_23
.LBB13_34:                              ;   in Loop: Header=BB13_6 Depth=1
	s_or_b64 s[36:37], s[36:37], exec
	v_mov_b32_e32 v12, v0
	v_mov_b32_e32 v5, v2
	s_or_b64 exec, exec, s[34:35]
	s_and_b64 exec, exec, s[36:37]
	s_cbranch_execz .LBB13_5
.LBB13_35:                              ;   in Loop: Header=BB13_6 Depth=1
	s_add_u32 s28, s0, s28
	v_ashrrev_i32_e32 v13, 31, v12
	s_addc_u32 s29, s1, s29
	v_mov_b32_e32 v11, v10
	v_mov_b32_e32 v9, v8
	v_lshl_add_u64 v[14:15], v[12:13], 3, s[28:29]
	s_mov_b64 s[28:29], 0
.LBB13_36:                              ;   Parent Loop BB13_6 Depth=1
                                        ; =>  This Inner Loop Header: Depth=2
	flat_load_dwordx2 v[26:27], v[14:15]
	ds_read_b64 v[28:29], v5
	v_add_u32_e32 v12, 0x200, v12
	v_cmp_le_i32_e32 vcc, s18, v12
	s_or_b64 s[28:29], vcc, s[28:29]
	v_add_u32_e32 v5, 0x1000, v5
	s_waitcnt lgkmcnt(0)
	v_pk_mul_f32 v[30:31], v[10:11], v[28:29] op_sel:[0,1] op_sel_hi:[1,0]
	s_nop 0
	v_pk_fma_f32 v[32:33], v[8:9], v[28:29], v[30:31] neg_lo:[0,0,1] neg_hi:[0,0,1]
	v_pk_fma_f32 v[28:29], v[8:9], v[28:29], v[30:31]
	s_nop 0
	v_mov_b32_e32 v33, v29
	s_waitcnt vmcnt(0)
	v_pk_add_f32 v[26:27], v[26:27], v[32:33]
	flat_store_dwordx2 v[14:15], v[26:27]
	v_lshl_add_u64 v[14:15], v[14:15], 0, s[26:27]
	s_andn2_b64 exec, exec, s[28:29]
	s_cbranch_execnz .LBB13_36
	s_branch .LBB13_5
.LBB13_37:
	s_endpgm
	.section	.rodata,"a",@progbits
	.p2align	6, 0x0
	.amdhsa_kernel _ZN9rocsolver6v33100L22larf_left_kernel_smallILi512E19rocblas_complex_numIfEiPKPS3_EEvT1_S7_T2_lS7_lPKT0_lS8_lS7_l
		.amdhsa_group_segment_fixed_size 20480
		.amdhsa_private_segment_fixed_size 0
		.amdhsa_kernarg_size 88
		.amdhsa_user_sgpr_count 2
		.amdhsa_user_sgpr_dispatch_ptr 0
		.amdhsa_user_sgpr_queue_ptr 0
		.amdhsa_user_sgpr_kernarg_segment_ptr 1
		.amdhsa_user_sgpr_dispatch_id 0
		.amdhsa_user_sgpr_kernarg_preload_length 0
		.amdhsa_user_sgpr_kernarg_preload_offset 0
		.amdhsa_user_sgpr_private_segment_size 0
		.amdhsa_uses_dynamic_stack 0
		.amdhsa_enable_private_segment 0
		.amdhsa_system_sgpr_workgroup_id_x 1
		.amdhsa_system_sgpr_workgroup_id_y 1
		.amdhsa_system_sgpr_workgroup_id_z 0
		.amdhsa_system_sgpr_workgroup_info 0
		.amdhsa_system_vgpr_workitem_id 0
		.amdhsa_next_free_vgpr 44
		.amdhsa_next_free_sgpr 47
		.amdhsa_accum_offset 44
		.amdhsa_reserve_vcc 1
		.amdhsa_float_round_mode_32 0
		.amdhsa_float_round_mode_16_64 0
		.amdhsa_float_denorm_mode_32 3
		.amdhsa_float_denorm_mode_16_64 3
		.amdhsa_dx10_clamp 1
		.amdhsa_ieee_mode 1
		.amdhsa_fp16_overflow 0
		.amdhsa_tg_split 0
		.amdhsa_exception_fp_ieee_invalid_op 0
		.amdhsa_exception_fp_denorm_src 0
		.amdhsa_exception_fp_ieee_div_zero 0
		.amdhsa_exception_fp_ieee_overflow 0
		.amdhsa_exception_fp_ieee_underflow 0
		.amdhsa_exception_fp_ieee_inexact 0
		.amdhsa_exception_int_div_zero 0
	.end_amdhsa_kernel
	.section	.text._ZN9rocsolver6v33100L22larf_left_kernel_smallILi512E19rocblas_complex_numIfEiPKPS3_EEvT1_S7_T2_lS7_lPKT0_lS8_lS7_l,"axG",@progbits,_ZN9rocsolver6v33100L22larf_left_kernel_smallILi512E19rocblas_complex_numIfEiPKPS3_EEvT1_S7_T2_lS7_lPKT0_lS8_lS7_l,comdat
.Lfunc_end13:
	.size	_ZN9rocsolver6v33100L22larf_left_kernel_smallILi512E19rocblas_complex_numIfEiPKPS3_EEvT1_S7_T2_lS7_lPKT0_lS8_lS7_l, .Lfunc_end13-_ZN9rocsolver6v33100L22larf_left_kernel_smallILi512E19rocblas_complex_numIfEiPKPS3_EEvT1_S7_T2_lS7_lPKT0_lS8_lS7_l
                                        ; -- End function
	.set _ZN9rocsolver6v33100L22larf_left_kernel_smallILi512E19rocblas_complex_numIfEiPKPS3_EEvT1_S7_T2_lS7_lPKT0_lS8_lS7_l.num_vgpr, 44
	.set _ZN9rocsolver6v33100L22larf_left_kernel_smallILi512E19rocblas_complex_numIfEiPKPS3_EEvT1_S7_T2_lS7_lPKT0_lS8_lS7_l.num_agpr, 0
	.set _ZN9rocsolver6v33100L22larf_left_kernel_smallILi512E19rocblas_complex_numIfEiPKPS3_EEvT1_S7_T2_lS7_lPKT0_lS8_lS7_l.numbered_sgpr, 47
	.set _ZN9rocsolver6v33100L22larf_left_kernel_smallILi512E19rocblas_complex_numIfEiPKPS3_EEvT1_S7_T2_lS7_lPKT0_lS8_lS7_l.num_named_barrier, 0
	.set _ZN9rocsolver6v33100L22larf_left_kernel_smallILi512E19rocblas_complex_numIfEiPKPS3_EEvT1_S7_T2_lS7_lPKT0_lS8_lS7_l.private_seg_size, 0
	.set _ZN9rocsolver6v33100L22larf_left_kernel_smallILi512E19rocblas_complex_numIfEiPKPS3_EEvT1_S7_T2_lS7_lPKT0_lS8_lS7_l.uses_vcc, 1
	.set _ZN9rocsolver6v33100L22larf_left_kernel_smallILi512E19rocblas_complex_numIfEiPKPS3_EEvT1_S7_T2_lS7_lPKT0_lS8_lS7_l.uses_flat_scratch, 0
	.set _ZN9rocsolver6v33100L22larf_left_kernel_smallILi512E19rocblas_complex_numIfEiPKPS3_EEvT1_S7_T2_lS7_lPKT0_lS8_lS7_l.has_dyn_sized_stack, 0
	.set _ZN9rocsolver6v33100L22larf_left_kernel_smallILi512E19rocblas_complex_numIfEiPKPS3_EEvT1_S7_T2_lS7_lPKT0_lS8_lS7_l.has_recursion, 0
	.set _ZN9rocsolver6v33100L22larf_left_kernel_smallILi512E19rocblas_complex_numIfEiPKPS3_EEvT1_S7_T2_lS7_lPKT0_lS8_lS7_l.has_indirect_call, 0
	.section	.AMDGPU.csdata,"",@progbits
; Kernel info:
; codeLenInByte = 2612
; TotalNumSgprs: 53
; NumVgprs: 44
; NumAgprs: 0
; TotalNumVgprs: 44
; ScratchSize: 0
; MemoryBound: 0
; FloatMode: 240
; IeeeMode: 1
; LDSByteSize: 20480 bytes/workgroup (compile time only)
; SGPRBlocks: 6
; VGPRBlocks: 5
; NumSGPRsForWavesPerEU: 53
; NumVGPRsForWavesPerEU: 44
; AccumOffset: 44
; Occupancy: 8
; WaveLimiterHint : 1
; COMPUTE_PGM_RSRC2:SCRATCH_EN: 0
; COMPUTE_PGM_RSRC2:USER_SGPR: 2
; COMPUTE_PGM_RSRC2:TRAP_HANDLER: 0
; COMPUTE_PGM_RSRC2:TGID_X_EN: 1
; COMPUTE_PGM_RSRC2:TGID_Y_EN: 1
; COMPUTE_PGM_RSRC2:TGID_Z_EN: 0
; COMPUTE_PGM_RSRC2:TIDIG_COMP_CNT: 0
; COMPUTE_PGM_RSRC3_GFX90A:ACCUM_OFFSET: 10
; COMPUTE_PGM_RSRC3_GFX90A:TG_SPLIT: 0
	.section	.text._ZN9rocsolver6v33100L22larf_left_kernel_smallILi1024E19rocblas_complex_numIfEiPKPS3_EEvT1_S7_T2_lS7_lPKT0_lS8_lS7_l,"axG",@progbits,_ZN9rocsolver6v33100L22larf_left_kernel_smallILi1024E19rocblas_complex_numIfEiPKPS3_EEvT1_S7_T2_lS7_lPKT0_lS8_lS7_l,comdat
	.globl	_ZN9rocsolver6v33100L22larf_left_kernel_smallILi1024E19rocblas_complex_numIfEiPKPS3_EEvT1_S7_T2_lS7_lPKT0_lS8_lS7_l ; -- Begin function _ZN9rocsolver6v33100L22larf_left_kernel_smallILi1024E19rocblas_complex_numIfEiPKPS3_EEvT1_S7_T2_lS7_lPKT0_lS8_lS7_l
	.p2align	8
	.type	_ZN9rocsolver6v33100L22larf_left_kernel_smallILi1024E19rocblas_complex_numIfEiPKPS3_EEvT1_S7_T2_lS7_lPKT0_lS8_lS7_l,@function
_ZN9rocsolver6v33100L22larf_left_kernel_smallILi1024E19rocblas_complex_numIfEiPKPS3_EEvT1_S7_T2_lS7_lPKT0_lS8_lS7_l: ; @_ZN9rocsolver6v33100L22larf_left_kernel_smallILi1024E19rocblas_complex_numIfEiPKPS3_EEvT1_S7_T2_lS7_lPKT0_lS8_lS7_l
; %bb.0:
	s_load_dwordx8 s[4:11], s[0:1], 0x28
	s_load_dwordx2 s[18:19], s[0:1], 0x0
	s_mov_b32 s16, s3
	s_ashr_i32 s3, s2, 31
	s_lshl_b64 s[20:21], s[2:3], 3
	s_waitcnt lgkmcnt(0)
	s_add_u32 s8, s8, s20
	s_addc_u32 s9, s9, s21
	s_load_dwordx2 s[8:9], s[8:9], 0x0
	v_cmp_gt_i32_e64 s[14:15], s18, v0
	v_lshlrev_b32_e32 v2, 3, v0
	s_and_saveexec_b64 s[12:13], s[14:15]
	s_cbranch_execz .LBB14_3
; %bb.1:
	s_load_dwordx4 s[24:27], s[0:1], 0x8
	s_load_dword s17, s[0:1], 0x18
	v_lshlrev_b32_e32 v1, 3, v0
	s_waitcnt lgkmcnt(0)
	s_add_u32 s20, s24, s20
	s_addc_u32 s21, s25, s21
	s_load_dwordx2 s[22:23], s[20:21], 0x0
	s_lshl_b64 s[24:25], s[26:27], 3
	v_mul_lo_u32 v3, v0, s17
	s_mov_b64 s[20:21], 0
	s_waitcnt lgkmcnt(0)
	s_add_u32 s22, s22, s24
	s_addc_u32 s23, s23, s25
	s_sub_i32 s24, 1, s18
	s_mul_i32 s24, s17, s24
	s_cmp_lt_i32 s17, 1
	s_cselect_b32 s24, s24, 0
	s_lshl_b32 s17, s17, 10
	v_add_u32_e32 v4, s24, v3
	v_mov_b32_e32 v3, v0
.LBB14_2:                               ; =>This Inner Loop Header: Depth=1
	v_ashrrev_i32_e32 v5, 31, v4
	v_lshl_add_u64 v[6:7], v[4:5], 3, s[22:23]
	flat_load_dwordx2 v[6:7], v[6:7]
	v_add_u32_e32 v3, 0x400, v3
	v_cmp_le_i32_e32 vcc, s18, v3
	v_add_u32_e32 v4, s17, v4
	s_or_b64 s[20:21], vcc, s[20:21]
	s_waitcnt vmcnt(0) lgkmcnt(0)
	ds_write_b64 v1, v[6:7]
	v_add_u32_e32 v1, 0x2000, v1
	s_andn2_b64 exec, exec, s[20:21]
	s_cbranch_execnz .LBB14_2
.LBB14_3:
	s_or_b64 exec, exec, s[12:13]
	s_cmp_ge_i32 s16, s19
	s_waitcnt lgkmcnt(0)
	s_barrier
	s_cbranch_scc1 .LBB14_37
; %bb.4:
	s_load_dword s17, s[0:1], 0x48
	s_lshl_b64 s[0:1], s[10:11], 3
	s_add_u32 s0, s8, s0
	s_mul_i32 s3, s6, s3
	s_mul_hi_u32 s8, s6, s2
	s_addc_u32 s1, s9, s1
	s_add_i32 s3, s8, s3
	s_mul_i32 s7, s7, s2
	s_add_i32 s3, s3, s7
	s_mul_i32 s2, s6, s2
	s_lshl_b64 s[2:3], s[2:3], 3
	s_add_u32 s20, s4, s2
	v_and_b32_e32 v1, 63, v0
	s_addc_u32 s21, s5, s3
	v_cmp_eq_u32_e64 s[2:3], 0, v1
	v_xad_u32 v1, v0, -1, s18
	v_lshrrev_b32_e32 v3, 10, v1
	v_add_u32_e32 v4, 1, v3
	v_add_u32_e32 v3, -1, v3
	v_and_b32_e32 v7, 0x7ffffe, v4
	v_lshrrev_b32_e32 v6, 1, v3
	v_cmp_ne_u32_e64 s[12:13], v4, v7
	v_mov_b32_e32 v4, 0
	v_add_u32_e32 v6, 1, v6
	v_cmp_lt_u32_e64 s[8:9], 5, v3
	v_mov_b32_e32 v3, v4
	v_lshrrev_b32_e32 v5, 3, v0
	v_lshl_or_b32 v16, v7, 10, v0
	v_and_b32_e32 v17, 3, v6
	v_and_b32_e32 v18, -4, v6
	v_lshl_add_u64 v[6:7], s[0:1], 0, v[2:3]
	v_mbcnt_lo_u32_b32 v3, -1, 0
	s_cmp_gt_i32 s18, 1
	s_movk_i32 s6, 0x3ff
	v_mbcnt_hi_u32_b32 v3, -1, v3
	v_or_b32_e32 v20, 0x4000, v5
	v_mov_b32_e32 v5, 0x80
	s_cselect_b64 s[22:23], -1, 0
	v_cmp_eq_u32_e64 s[4:5], 0, v0
	v_cmp_lt_u32_e64 s[6:7], s6, v1
	v_or_b32_e32 v1, 0x400, v0
	v_cmp_ne_u32_e64 s[10:11], 0, v17
	s_waitcnt lgkmcnt(0)
	s_mul_i32 s24, s16, s17
	s_lshl_b32 s33, s17, 6
	s_mov_b64 s[26:27], 0x2000
	v_and_b32_e32 v19, 63, v3
	v_mov_b32_e32 v21, 0x4008
	v_mov_b32_e32 v22, 0x4018
	;; [unrolled: 1-line block ×7, first 2 shown]
	v_lshl_or_b32 v28, v3, 2, v5
	s_branch .LBB14_6
.LBB14_5:                               ;   in Loop: Header=BB14_6 Depth=1
	s_or_b64 exec, exec, s[30:31]
	s_add_i32 s16, s16, 64
	s_add_i32 s24, s24, s33
	s_cmp_ge_i32 s16, s19
	s_cbranch_scc1 .LBB14_37
.LBB14_6:                               ; =>This Loop Header: Depth=1
                                        ;     Child Loop BB14_8 Depth 2
                                        ;     Child Loop BB14_26 Depth 2
                                        ;     Child Loop BB14_30 Depth 2
                                        ;     Child Loop BB14_36 Depth 2
	s_ashr_i32 s25, s24, 31
	v_mov_b32_e32 v5, v4
	s_lshl_b64 s[28:29], s[24:25], 3
	v_mov_b64_e32 v[8:9], v[4:5]
	s_and_saveexec_b64 s[30:31], s[14:15]
	s_cbranch_execz .LBB14_10
; %bb.7:                                ;   in Loop: Header=BB14_6 Depth=1
	v_mov_b32_e32 v8, 0
	v_lshl_add_u64 v[10:11], v[6:7], 0, s[28:29]
	s_mov_b64 s[34:35], 0
	v_mov_b32_e32 v5, v2
	v_mov_b32_e32 v12, v0
	;; [unrolled: 1-line block ×3, first 2 shown]
.LBB14_8:                               ;   Parent Loop BB14_6 Depth=1
                                        ; =>  This Inner Loop Header: Depth=2
	flat_load_dwordx2 v[14:15], v[10:11]
	ds_read_b64 v[30:31], v5
	v_add_u32_e32 v12, 0x400, v12
	v_cmp_le_i32_e32 vcc, s18, v12
	v_add_u32_e32 v5, 0x2000, v5
	v_lshl_add_u64 v[10:11], v[10:11], 0, s[26:27]
	s_waitcnt lgkmcnt(0)
	v_mov_b32_e32 v32, v31
	s_or_b64 s[34:35], vcc, s[34:35]
	s_waitcnt vmcnt(0)
	v_pk_mul_f32 v[34:35], v[14:15], v[30:31] op_sel_hi:[1,0]
	s_nop 0
	v_pk_fma_f32 v[32:33], v[14:15], v[32:33], v[34:35] op_sel:[1,0,0] op_sel_hi:[0,1,1]
	v_pk_fma_f32 v[14:15], v[14:15], v[30:31], v[34:35] op_sel:[1,1,0] op_sel_hi:[0,1,1] neg_lo:[0,0,1] neg_hi:[0,0,1]
	v_mov_b32_e32 v33, v15
	v_pk_add_f32 v[8:9], v[8:9], v[32:33]
	s_andn2_b64 exec, exec, s[34:35]
	s_cbranch_execnz .LBB14_8
; %bb.9:                                ;   in Loop: Header=BB14_6 Depth=1
	s_or_b64 exec, exec, s[34:35]
.LBB14_10:                              ;   in Loop: Header=BB14_6 Depth=1
	s_or_b64 exec, exec, s[30:31]
	s_and_b64 vcc, exec, s[22:23]
	s_cbranch_vccz .LBB14_17
; %bb.11:                               ;   in Loop: Header=BB14_6 Depth=1
	v_cmp_ne_u32_e32 vcc, 63, v19
	s_nop 1
	v_addc_co_u32_e32 v5, vcc, 0, v3, vcc
	v_lshlrev_b32_e32 v5, 2, v5
	ds_bpermute_b32 v10, v5, v8
	ds_bpermute_b32 v11, v5, v9
	v_cmp_gt_u32_e32 vcc, 62, v19
	s_waitcnt lgkmcnt(0)
	v_pk_add_f32 v[10:11], v[8:9], v[10:11]
	v_cndmask_b32_e64 v5, 0, 2, vcc
	v_add_lshl_u32 v5, v5, v3, 2
	ds_bpermute_b32 v12, v5, v10
	ds_bpermute_b32 v13, v5, v11
	v_cmp_gt_u32_e32 vcc, 60, v19
	s_waitcnt lgkmcnt(0)
	v_pk_add_f32 v[10:11], v[10:11], v[12:13]
	v_cndmask_b32_e64 v5, 0, 4, vcc
	v_add_lshl_u32 v5, v5, v3, 2
	;; [unrolled: 7-line block ×4, first 2 shown]
	ds_bpermute_b32 v12, v5, v10
	ds_bpermute_b32 v13, v5, v11
	s_waitcnt lgkmcnt(0)
	v_pk_add_f32 v[10:11], v[10:11], v[12:13]
	ds_bpermute_b32 v12, v28, v10
	ds_bpermute_b32 v13, v28, v11
	s_waitcnt lgkmcnt(0)
	v_pk_add_f32 v[10:11], v[10:11], v[12:13]
	s_and_saveexec_b64 s[30:31], s[2:3]
; %bb.12:                               ;   in Loop: Header=BB14_6 Depth=1
	ds_write2_b32 v20, v10, v11 offset1:1
; %bb.13:                               ;   in Loop: Header=BB14_6 Depth=1
	s_or_b64 exec, exec, s[30:31]
	s_mov_b64 s[34:35], 0
	s_mov_b64 s[30:31], 0
	s_waitcnt lgkmcnt(0)
	s_barrier
                                        ; implicit-def: $vgpr12_vgpr13
	s_and_saveexec_b64 s[36:37], s[4:5]
	s_xor_b64 s[36:37], exec, s[36:37]
	s_cbranch_execz .LBB14_15
; %bb.14:                               ;   in Loop: Header=BB14_6 Depth=1
	ds_read2_b64 v[12:15], v21 offset1:1
	ds_read2_b64 v[30:33], v22 offset1:1
	;; [unrolled: 1-line block ×3, first 2 shown]
	ds_read_b64 v[38:39], v4 offset:16504
	s_mov_b64 s[30:31], exec
	s_waitcnt lgkmcnt(0)
	v_pk_add_f32 v[10:11], v[10:11], v[12:13]
	s_nop 0
	v_pk_add_f32 v[10:11], v[10:11], v[14:15]
	s_waitcnt lgkmcnt(2)
	v_pk_add_f32 v[14:15], v[10:11], v[30:31]
	ds_read2_b64 v[10:13], v24 offset1:1
	v_pk_add_f32 v[14:15], v[14:15], v[32:33]
	ds_read2_b64 v[30:33], v25 offset1:1
	s_waitcnt lgkmcnt(3)
	v_pk_add_f32 v[14:15], v[14:15], v[34:35]
	s_nop 0
	v_pk_add_f32 v[14:15], v[14:15], v[36:37]
	ds_read2_b64 v[34:37], v26 offset1:1
	s_waitcnt lgkmcnt(0)
	v_pk_add_f32 v[10:11], v[14:15], v[10:11]
	s_nop 0
	;; [unrolled: 5-line block ×3, first 2 shown]
	v_pk_add_f32 v[14:15], v[14:15], v[32:33]
	s_waitcnt lgkmcnt(1)
	v_pk_add_f32 v[14:15], v[14:15], v[34:35]
	s_nop 0
	v_pk_add_f32 v[14:15], v[14:15], v[36:37]
	s_waitcnt lgkmcnt(0)
	v_pk_add_f32 v[10:11], v[14:15], v[10:11]
	s_nop 0
	v_pk_add_f32 v[10:11], v[10:11], v[12:13]
	s_nop 0
	v_pk_add_f32 v[12:13], v[10:11], v[38:39]
.LBB14_15:                              ;   in Loop: Header=BB14_6 Depth=1
	s_or_b64 exec, exec, s[36:37]
	s_and_b64 vcc, exec, s[34:35]
	s_cbranch_vccnz .LBB14_18
.LBB14_16:                              ;   in Loop: Header=BB14_6 Depth=1
	v_mov_b64_e32 v[8:9], v[12:13]
	s_and_saveexec_b64 s[34:35], s[30:31]
	s_cbranch_execnz .LBB14_19
	s_branch .LBB14_20
.LBB14_17:                              ;   in Loop: Header=BB14_6 Depth=1
	s_mov_b64 s[30:31], 0
                                        ; implicit-def: $vgpr12_vgpr13
	s_cbranch_execz .LBB14_16
.LBB14_18:                              ;   in Loop: Header=BB14_6 Depth=1
	s_andn2_b64 s[30:31], s[30:31], exec
	s_and_b64 s[34:35], s[4:5], exec
	s_or_b64 s[30:31], s[30:31], s[34:35]
	s_and_saveexec_b64 s[34:35], s[30:31]
.LBB14_19:                              ;   in Loop: Header=BB14_6 Depth=1
	ds_write_b64 v4, v[8:9] offset:16384
.LBB14_20:                              ;   in Loop: Header=BB14_6 Depth=1
	s_or_b64 exec, exec, s[34:35]
	s_waitcnt lgkmcnt(0)
	s_barrier
	s_and_saveexec_b64 s[30:31], s[14:15]
	s_cbranch_execz .LBB14_5
; %bb.21:                               ;   in Loop: Header=BB14_6 Depth=1
	global_load_dwordx2 v[10:11], v4, s[20:21]
	ds_read_b64 v[8:9], v4 offset:16384
	s_mov_b64 s[36:37], 0
	s_waitcnt vmcnt(0) lgkmcnt(0)
	v_mul_f32_e32 v5, v11, v9
	v_mul_f32_e32 v11, v11, v8
	v_fma_f32 v8, v8, -v10, -v5
	v_fma_f32 v10, v10, v9, -v11
                                        ; implicit-def: $vgpr5
	s_and_saveexec_b64 s[34:35], s[6:7]
	s_xor_b64 s[34:35], exec, s[34:35]
	s_cbranch_execnz .LBB14_24
; %bb.22:                               ;   in Loop: Header=BB14_6 Depth=1
	s_or_saveexec_b64 s[34:35], s[34:35]
	v_mov_b32_e32 v12, v16
	s_xor_b64 exec, exec, s[34:35]
	s_cbranch_execnz .LBB14_34
.LBB14_23:                              ;   in Loop: Header=BB14_6 Depth=1
	s_or_b64 exec, exec, s[34:35]
	s_and_b64 exec, exec, s[36:37]
	s_cbranch_execz .LBB14_5
	s_branch .LBB14_35
.LBB14_24:                              ;   in Loop: Header=BB14_6 Depth=1
	s_mul_i32 s25, s16, s17
	v_mov_b32_e32 v9, v8
	v_mov_b32_e32 v11, v10
	;; [unrolled: 1-line block ×3, first 2 shown]
	v_mov_b64_e32 v[12:13], v[0:1]
	s_and_saveexec_b64 s[36:37], s[8:9]
	s_cbranch_execz .LBB14_28
; %bb.25:                               ;   in Loop: Header=BB14_6 Depth=1
	s_add_i32 s40, s25, 0x800
	s_add_i32 s42, s25, 0x1000
	s_add_i32 s44, s25, 0x1800
	s_mov_b32 s41, s40
	s_mov_b32 s43, s42
	;; [unrolled: 1-line block ×4, first 2 shown]
	s_mov_b64 s[38:39], 0
	v_mov_b32_e32 v5, v18
	v_mov_b32_e32 v14, v2
	v_mov_b64_e32 v[12:13], v[0:1]
.LBB14_26:                              ;   Parent Loop BB14_6 Depth=1
                                        ; =>  This Inner Loop Header: Depth=2
	v_add_u32_e32 v30, s25, v12
	v_add_u32_e32 v32, s25, v13
	v_ashrrev_i32_e32 v31, 31, v30
	v_ashrrev_i32_e32 v33, 31, v32
	v_lshl_add_u64 v[34:35], v[30:31], 3, s[0:1]
	v_lshl_add_u64 v[36:37], v[32:33], 3, s[0:1]
	flat_load_dwordx2 v[38:39], v[34:35]
	flat_load_dwordx2 v[40:41], v[36:37]
	ds_read2st64_b64 v[30:33], v14 offset1:16
	v_add_u32_e32 v42, s40, v12
	v_add_u32_e32 v44, s41, v13
	v_ashrrev_i32_e32 v43, 31, v42
	v_ashrrev_i32_e32 v45, 31, v44
	s_waitcnt lgkmcnt(0)
	v_mov_b32_e32 v47, v32
	v_mov_b32_e32 v32, v31
	v_mov_b32_e32 v46, v30
	v_pk_mul_f32 v[30:31], v[10:11], v[32:33]
	v_pk_mul_f32 v[32:33], v[8:9], v[32:33]
	v_pk_fma_f32 v[30:31], v[8:9], v[46:47], v[30:31] neg_lo:[0,0,1] neg_hi:[0,0,1]
	v_pk_fma_f32 v[32:33], v[10:11], v[46:47], v[32:33]
	v_lshl_add_u64 v[42:43], v[42:43], 3, s[0:1]
	v_lshl_add_u64 v[44:45], v[44:45], 3, s[0:1]
	v_add_u32_e32 v5, -4, v5
	s_add_i32 s46, s46, 8
	v_cmp_eq_u32_e32 vcc, 0, v5
	v_mov_b32_e32 v15, s46
	s_or_b64 s[38:39], vcc, s[38:39]
	s_waitcnt vmcnt(0)
	v_mov_b32_e32 v46, v38
	v_mov_b32_e32 v47, v40
	;; [unrolled: 1-line block ×3, first 2 shown]
	v_pk_add_f32 v[30:31], v[46:47], v[30:31]
	v_pk_add_f32 v[32:33], v[32:33], v[40:41]
	v_mov_b32_e32 v38, v30
	v_mov_b32_e32 v39, v32
	;; [unrolled: 1-line block ×3, first 2 shown]
	flat_store_dwordx2 v[34:35], v[38:39]
	flat_store_dwordx2 v[36:37], v[32:33]
	flat_load_dwordx2 v[34:35], v[42:43]
	s_nop 0
	flat_load_dwordx2 v[36:37], v[44:45]
	v_add_u32_e32 v30, s42, v12
	v_add_u32_e32 v32, s43, v13
	v_ashrrev_i32_e32 v33, 31, v32
	v_ashrrev_i32_e32 v31, 31, v30
	v_lshl_add_u64 v[38:39], v[30:31], 3, s[0:1]
	v_lshl_add_u64 v[40:41], v[32:33], 3, s[0:1]
	ds_read2st64_b64 v[30:33], v14 offset0:32 offset1:48
	s_waitcnt lgkmcnt(0)
	v_mov_b32_e32 v47, v32
	v_mov_b32_e32 v32, v31
	;; [unrolled: 1-line block ×3, first 2 shown]
	v_pk_mul_f32 v[30:31], v[10:11], v[32:33]
	v_pk_mul_f32 v[32:33], v[8:9], v[32:33]
	v_pk_fma_f32 v[30:31], v[8:9], v[46:47], v[30:31] neg_lo:[0,0,1] neg_hi:[0,0,1]
	v_pk_fma_f32 v[32:33], v[10:11], v[46:47], v[32:33]
	s_waitcnt vmcnt(0)
	v_mov_b32_e32 v46, v34
	v_mov_b32_e32 v47, v36
	v_mov_b32_e32 v36, v35
	v_pk_add_f32 v[30:31], v[46:47], v[30:31]
	v_pk_add_f32 v[32:33], v[32:33], v[36:37]
	v_mov_b32_e32 v34, v30
	v_mov_b32_e32 v35, v32
	v_mov_b32_e32 v32, v31
	flat_store_dwordx2 v[42:43], v[34:35]
	flat_store_dwordx2 v[44:45], v[32:33]
	flat_load_dwordx2 v[34:35], v[38:39]
	s_nop 0
	flat_load_dwordx2 v[36:37], v[40:41]
	v_add_u32_e32 v30, s44, v12
	v_add_u32_e32 v32, s45, v13
	v_ashrrev_i32_e32 v33, 31, v32
	v_ashrrev_i32_e32 v31, 31, v30
	v_lshl_add_u64 v[42:43], v[30:31], 3, s[0:1]
	v_lshl_add_u64 v[44:45], v[32:33], 3, s[0:1]
	ds_read2st64_b64 v[30:33], v14 offset0:64 offset1:80
	v_add_u32_e32 v13, 0x2000, v13
	v_add_u32_e32 v12, 0x2000, v12
	s_waitcnt lgkmcnt(0)
	v_mov_b32_e32 v47, v32
	v_mov_b32_e32 v32, v31
	;; [unrolled: 1-line block ×3, first 2 shown]
	v_pk_mul_f32 v[30:31], v[10:11], v[32:33]
	v_pk_mul_f32 v[32:33], v[8:9], v[32:33]
	v_pk_fma_f32 v[30:31], v[8:9], v[46:47], v[30:31] neg_lo:[0,0,1] neg_hi:[0,0,1]
	v_pk_fma_f32 v[32:33], v[10:11], v[46:47], v[32:33]
	s_waitcnt vmcnt(0)
	v_mov_b32_e32 v46, v34
	v_mov_b32_e32 v47, v36
	;; [unrolled: 1-line block ×3, first 2 shown]
	v_pk_add_f32 v[30:31], v[46:47], v[30:31]
	v_pk_add_f32 v[32:33], v[32:33], v[36:37]
	v_mov_b32_e32 v34, v30
	v_mov_b32_e32 v35, v32
	;; [unrolled: 1-line block ×3, first 2 shown]
	flat_store_dwordx2 v[38:39], v[34:35]
	flat_store_dwordx2 v[40:41], v[32:33]
	flat_load_dwordx2 v[34:35], v[42:43]
	s_nop 0
	flat_load_dwordx2 v[36:37], v[44:45]
	ds_read2st64_b64 v[30:33], v14 offset0:96 offset1:112
	v_add_u32_e32 v14, 0x10000, v14
	s_waitcnt lgkmcnt(0)
	v_mov_b32_e32 v39, v32
	v_mov_b32_e32 v32, v31
	v_mov_b32_e32 v38, v30
	v_pk_mul_f32 v[30:31], v[10:11], v[32:33]
	v_pk_mul_f32 v[32:33], v[8:9], v[32:33]
	v_pk_fma_f32 v[30:31], v[8:9], v[38:39], v[30:31] neg_lo:[0,0,1] neg_hi:[0,0,1]
	v_pk_fma_f32 v[32:33], v[10:11], v[38:39], v[32:33]
	s_waitcnt vmcnt(0)
	v_mov_b32_e32 v38, v34
	v_mov_b32_e32 v39, v36
	v_mov_b32_e32 v36, v35
	v_pk_add_f32 v[30:31], v[38:39], v[30:31]
	v_pk_add_f32 v[32:33], v[32:33], v[36:37]
	v_mov_b32_e32 v34, v30
	v_mov_b32_e32 v35, v32
	;; [unrolled: 1-line block ×3, first 2 shown]
	flat_store_dwordx2 v[42:43], v[34:35]
	flat_store_dwordx2 v[44:45], v[32:33]
	s_andn2_b64 exec, exec, s[38:39]
	s_cbranch_execnz .LBB14_26
; %bb.27:                               ;   in Loop: Header=BB14_6 Depth=1
	s_or_b64 exec, exec, s[38:39]
.LBB14_28:                              ;   in Loop: Header=BB14_6 Depth=1
	s_or_b64 exec, exec, s[36:37]
	s_and_saveexec_b64 s[36:37], s[10:11]
	s_cbranch_execz .LBB14_31
; %bb.29:                               ;   in Loop: Header=BB14_6 Depth=1
	v_lshl_or_b32 v5, v15, 13, v2
	s_mov_b64 s[38:39], 0
	v_mov_b32_e32 v14, v17
.LBB14_30:                              ;   Parent Loop BB14_6 Depth=1
                                        ; =>  This Inner Loop Header: Depth=2
	v_add_u32_e32 v30, s25, v12
	v_add_u32_e32 v32, s25, v13
	v_ashrrev_i32_e32 v31, 31, v30
	v_ashrrev_i32_e32 v33, 31, v32
	v_lshl_add_u64 v[34:35], v[30:31], 3, s[0:1]
	v_lshl_add_u64 v[36:37], v[32:33], 3, s[0:1]
	flat_load_dwordx2 v[38:39], v[34:35]
	flat_load_dwordx2 v[40:41], v[36:37]
	ds_read2st64_b64 v[30:33], v5 offset1:16
	v_add_u32_e32 v14, -1, v14
	v_cmp_eq_u32_e32 vcc, 0, v14
	v_add_u32_e32 v13, 0x800, v13
	v_add_u32_e32 v12, 0x800, v12
	s_waitcnt lgkmcnt(0)
	v_mov_b32_e32 v43, v32
	v_mov_b32_e32 v32, v31
	;; [unrolled: 1-line block ×3, first 2 shown]
	v_pk_mul_f32 v[30:31], v[10:11], v[32:33]
	v_pk_mul_f32 v[32:33], v[8:9], v[32:33]
	v_pk_fma_f32 v[30:31], v[8:9], v[42:43], v[30:31] neg_lo:[0,0,1] neg_hi:[0,0,1]
	v_pk_fma_f32 v[32:33], v[10:11], v[42:43], v[32:33]
	v_add_u32_e32 v5, 0x4000, v5
	s_or_b64 s[38:39], vcc, s[38:39]
	s_waitcnt vmcnt(0)
	v_mov_b32_e32 v42, v38
	v_mov_b32_e32 v43, v40
	;; [unrolled: 1-line block ×3, first 2 shown]
	v_pk_add_f32 v[30:31], v[42:43], v[30:31]
	v_pk_add_f32 v[32:33], v[32:33], v[40:41]
	v_mov_b32_e32 v38, v30
	v_mov_b32_e32 v39, v32
	;; [unrolled: 1-line block ×3, first 2 shown]
	flat_store_dwordx2 v[34:35], v[38:39]
	flat_store_dwordx2 v[36:37], v[32:33]
	s_andn2_b64 exec, exec, s[38:39]
	s_cbranch_execnz .LBB14_30
.LBB14_31:                              ;   in Loop: Header=BB14_6 Depth=1
	s_or_b64 exec, exec, s[36:37]
	s_mov_b64 s[36:37], 0
                                        ; implicit-def: $vgpr5
	s_and_saveexec_b64 s[38:39], s[12:13]
	s_xor_b64 s[38:39], exec, s[38:39]
; %bb.32:                               ;   in Loop: Header=BB14_6 Depth=1
	s_mov_b64 s[36:37], exec
	v_lshlrev_b32_e32 v5, 3, v16
; %bb.33:                               ;   in Loop: Header=BB14_6 Depth=1
	s_or_b64 exec, exec, s[38:39]
	s_and_b64 s[36:37], s[36:37], exec
	s_or_saveexec_b64 s[34:35], s[34:35]
	v_mov_b32_e32 v12, v16
	s_xor_b64 exec, exec, s[34:35]
	s_cbranch_execz .LBB14_23
.LBB14_34:                              ;   in Loop: Header=BB14_6 Depth=1
	s_or_b64 s[36:37], s[36:37], exec
	v_mov_b32_e32 v12, v0
	v_mov_b32_e32 v5, v2
	s_or_b64 exec, exec, s[34:35]
	s_and_b64 exec, exec, s[36:37]
	s_cbranch_execz .LBB14_5
.LBB14_35:                              ;   in Loop: Header=BB14_6 Depth=1
	s_add_u32 s28, s0, s28
	v_ashrrev_i32_e32 v13, 31, v12
	s_addc_u32 s29, s1, s29
	v_mov_b32_e32 v11, v10
	v_mov_b32_e32 v9, v8
	v_lshl_add_u64 v[14:15], v[12:13], 3, s[28:29]
	s_mov_b64 s[28:29], 0
.LBB14_36:                              ;   Parent Loop BB14_6 Depth=1
                                        ; =>  This Inner Loop Header: Depth=2
	flat_load_dwordx2 v[30:31], v[14:15]
	ds_read_b64 v[32:33], v5
	v_add_u32_e32 v12, 0x400, v12
	v_cmp_le_i32_e32 vcc, s18, v12
	s_or_b64 s[28:29], vcc, s[28:29]
	v_add_u32_e32 v5, 0x2000, v5
	s_waitcnt lgkmcnt(0)
	v_pk_mul_f32 v[34:35], v[10:11], v[32:33] op_sel:[0,1] op_sel_hi:[1,0]
	s_nop 0
	v_pk_fma_f32 v[36:37], v[8:9], v[32:33], v[34:35] neg_lo:[0,0,1] neg_hi:[0,0,1]
	v_pk_fma_f32 v[32:33], v[8:9], v[32:33], v[34:35]
	s_nop 0
	v_mov_b32_e32 v37, v33
	s_waitcnt vmcnt(0)
	v_pk_add_f32 v[30:31], v[30:31], v[36:37]
	flat_store_dwordx2 v[14:15], v[30:31]
	v_lshl_add_u64 v[14:15], v[14:15], 0, s[26:27]
	s_andn2_b64 exec, exec, s[28:29]
	s_cbranch_execnz .LBB14_36
	s_branch .LBB14_5
.LBB14_37:
	s_endpgm
	.section	.rodata,"a",@progbits
	.p2align	6, 0x0
	.amdhsa_kernel _ZN9rocsolver6v33100L22larf_left_kernel_smallILi1024E19rocblas_complex_numIfEiPKPS3_EEvT1_S7_T2_lS7_lPKT0_lS8_lS7_l
		.amdhsa_group_segment_fixed_size 24576
		.amdhsa_private_segment_fixed_size 0
		.amdhsa_kernarg_size 88
		.amdhsa_user_sgpr_count 2
		.amdhsa_user_sgpr_dispatch_ptr 0
		.amdhsa_user_sgpr_queue_ptr 0
		.amdhsa_user_sgpr_kernarg_segment_ptr 1
		.amdhsa_user_sgpr_dispatch_id 0
		.amdhsa_user_sgpr_kernarg_preload_length 0
		.amdhsa_user_sgpr_kernarg_preload_offset 0
		.amdhsa_user_sgpr_private_segment_size 0
		.amdhsa_uses_dynamic_stack 0
		.amdhsa_enable_private_segment 0
		.amdhsa_system_sgpr_workgroup_id_x 1
		.amdhsa_system_sgpr_workgroup_id_y 1
		.amdhsa_system_sgpr_workgroup_id_z 0
		.amdhsa_system_sgpr_workgroup_info 0
		.amdhsa_system_vgpr_workitem_id 0
		.amdhsa_next_free_vgpr 48
		.amdhsa_next_free_sgpr 47
		.amdhsa_accum_offset 48
		.amdhsa_reserve_vcc 1
		.amdhsa_float_round_mode_32 0
		.amdhsa_float_round_mode_16_64 0
		.amdhsa_float_denorm_mode_32 3
		.amdhsa_float_denorm_mode_16_64 3
		.amdhsa_dx10_clamp 1
		.amdhsa_ieee_mode 1
		.amdhsa_fp16_overflow 0
		.amdhsa_tg_split 0
		.amdhsa_exception_fp_ieee_invalid_op 0
		.amdhsa_exception_fp_denorm_src 0
		.amdhsa_exception_fp_ieee_div_zero 0
		.amdhsa_exception_fp_ieee_overflow 0
		.amdhsa_exception_fp_ieee_underflow 0
		.amdhsa_exception_fp_ieee_inexact 0
		.amdhsa_exception_int_div_zero 0
	.end_amdhsa_kernel
	.section	.text._ZN9rocsolver6v33100L22larf_left_kernel_smallILi1024E19rocblas_complex_numIfEiPKPS3_EEvT1_S7_T2_lS7_lPKT0_lS8_lS7_l,"axG",@progbits,_ZN9rocsolver6v33100L22larf_left_kernel_smallILi1024E19rocblas_complex_numIfEiPKPS3_EEvT1_S7_T2_lS7_lPKT0_lS8_lS7_l,comdat
.Lfunc_end14:
	.size	_ZN9rocsolver6v33100L22larf_left_kernel_smallILi1024E19rocblas_complex_numIfEiPKPS3_EEvT1_S7_T2_lS7_lPKT0_lS8_lS7_l, .Lfunc_end14-_ZN9rocsolver6v33100L22larf_left_kernel_smallILi1024E19rocblas_complex_numIfEiPKPS3_EEvT1_S7_T2_lS7_lPKT0_lS8_lS7_l
                                        ; -- End function
	.set _ZN9rocsolver6v33100L22larf_left_kernel_smallILi1024E19rocblas_complex_numIfEiPKPS3_EEvT1_S7_T2_lS7_lPKT0_lS8_lS7_l.num_vgpr, 48
	.set _ZN9rocsolver6v33100L22larf_left_kernel_smallILi1024E19rocblas_complex_numIfEiPKPS3_EEvT1_S7_T2_lS7_lPKT0_lS8_lS7_l.num_agpr, 0
	.set _ZN9rocsolver6v33100L22larf_left_kernel_smallILi1024E19rocblas_complex_numIfEiPKPS3_EEvT1_S7_T2_lS7_lPKT0_lS8_lS7_l.numbered_sgpr, 47
	.set _ZN9rocsolver6v33100L22larf_left_kernel_smallILi1024E19rocblas_complex_numIfEiPKPS3_EEvT1_S7_T2_lS7_lPKT0_lS8_lS7_l.num_named_barrier, 0
	.set _ZN9rocsolver6v33100L22larf_left_kernel_smallILi1024E19rocblas_complex_numIfEiPKPS3_EEvT1_S7_T2_lS7_lPKT0_lS8_lS7_l.private_seg_size, 0
	.set _ZN9rocsolver6v33100L22larf_left_kernel_smallILi1024E19rocblas_complex_numIfEiPKPS3_EEvT1_S7_T2_lS7_lPKT0_lS8_lS7_l.uses_vcc, 1
	.set _ZN9rocsolver6v33100L22larf_left_kernel_smallILi1024E19rocblas_complex_numIfEiPKPS3_EEvT1_S7_T2_lS7_lPKT0_lS8_lS7_l.uses_flat_scratch, 0
	.set _ZN9rocsolver6v33100L22larf_left_kernel_smallILi1024E19rocblas_complex_numIfEiPKPS3_EEvT1_S7_T2_lS7_lPKT0_lS8_lS7_l.has_dyn_sized_stack, 0
	.set _ZN9rocsolver6v33100L22larf_left_kernel_smallILi1024E19rocblas_complex_numIfEiPKPS3_EEvT1_S7_T2_lS7_lPKT0_lS8_lS7_l.has_recursion, 0
	.set _ZN9rocsolver6v33100L22larf_left_kernel_smallILi1024E19rocblas_complex_numIfEiPKPS3_EEvT1_S7_T2_lS7_lPKT0_lS8_lS7_l.has_indirect_call, 0
	.section	.AMDGPU.csdata,"",@progbits
; Kernel info:
; codeLenInByte = 2768
; TotalNumSgprs: 53
; NumVgprs: 48
; NumAgprs: 0
; TotalNumVgprs: 48
; ScratchSize: 0
; MemoryBound: 0
; FloatMode: 240
; IeeeMode: 1
; LDSByteSize: 24576 bytes/workgroup (compile time only)
; SGPRBlocks: 6
; VGPRBlocks: 5
; NumSGPRsForWavesPerEU: 53
; NumVGPRsForWavesPerEU: 48
; AccumOffset: 48
; Occupancy: 8
; WaveLimiterHint : 1
; COMPUTE_PGM_RSRC2:SCRATCH_EN: 0
; COMPUTE_PGM_RSRC2:USER_SGPR: 2
; COMPUTE_PGM_RSRC2:TRAP_HANDLER: 0
; COMPUTE_PGM_RSRC2:TGID_X_EN: 1
; COMPUTE_PGM_RSRC2:TGID_Y_EN: 1
; COMPUTE_PGM_RSRC2:TGID_Z_EN: 0
; COMPUTE_PGM_RSRC2:TIDIG_COMP_CNT: 0
; COMPUTE_PGM_RSRC3_GFX90A:ACCUM_OFFSET: 11
; COMPUTE_PGM_RSRC3_GFX90A:TG_SPLIT: 0
	.section	.text._ZN9rocsolver6v33100L23larf_right_kernel_smallILi64E19rocblas_complex_numIfEiPKPS3_EEvT1_S7_T2_lS7_lPKT0_lS8_lS7_l,"axG",@progbits,_ZN9rocsolver6v33100L23larf_right_kernel_smallILi64E19rocblas_complex_numIfEiPKPS3_EEvT1_S7_T2_lS7_lPKT0_lS8_lS7_l,comdat
	.globl	_ZN9rocsolver6v33100L23larf_right_kernel_smallILi64E19rocblas_complex_numIfEiPKPS3_EEvT1_S7_T2_lS7_lPKT0_lS8_lS7_l ; -- Begin function _ZN9rocsolver6v33100L23larf_right_kernel_smallILi64E19rocblas_complex_numIfEiPKPS3_EEvT1_S7_T2_lS7_lPKT0_lS8_lS7_l
	.p2align	8
	.type	_ZN9rocsolver6v33100L23larf_right_kernel_smallILi64E19rocblas_complex_numIfEiPKPS3_EEvT1_S7_T2_lS7_lPKT0_lS8_lS7_l,@function
_ZN9rocsolver6v33100L23larf_right_kernel_smallILi64E19rocblas_complex_numIfEiPKPS3_EEvT1_S7_T2_lS7_lPKT0_lS8_lS7_l: ; @_ZN9rocsolver6v33100L23larf_right_kernel_smallILi64E19rocblas_complex_numIfEiPKPS3_EEvT1_S7_T2_lS7_lPKT0_lS8_lS7_l
; %bb.0:
	s_load_dwordx8 s[8:15], s[0:1], 0x28
	s_load_dwordx2 s[16:17], s[0:1], 0x0
	s_mov_b32 s6, s3
	s_ashr_i32 s3, s2, 31
	s_lshl_b64 s[20:21], s[2:3], 3
	s_waitcnt lgkmcnt(0)
	s_add_u32 s4, s12, s20
	s_addc_u32 s5, s13, s21
	s_load_dwordx2 s[12:13], s[4:5], 0x0
	v_cmp_gt_i32_e64 s[4:5], s17, v0
	v_lshlrev_b32_e32 v1, 3, v0
	s_and_saveexec_b64 s[18:19], s[4:5]
	s_cbranch_execz .LBB15_3
; %bb.1:
	s_load_dwordx4 s[24:27], s[0:1], 0x8
	s_load_dword s7, s[0:1], 0x18
	v_lshlrev_b32_e32 v4, 3, v0
	v_mov_b32_e32 v5, v0
	s_waitcnt lgkmcnt(0)
	s_add_u32 s20, s24, s20
	s_addc_u32 s21, s25, s21
	s_load_dwordx2 s[22:23], s[20:21], 0x0
	s_lshl_b64 s[24:25], s[26:27], 3
	v_mul_lo_u32 v2, v0, s7
	s_mov_b64 s[20:21], 0
	s_waitcnt lgkmcnt(0)
	s_add_u32 s22, s22, s24
	s_addc_u32 s23, s23, s25
	s_sub_i32 s24, 1, s17
	s_mul_i32 s24, s7, s24
	s_cmp_lt_i32 s7, 1
	s_cselect_b32 s24, s24, 0
	s_lshl_b32 s7, s7, 6
	v_add_u32_e32 v2, s24, v2
.LBB15_2:                               ; =>This Inner Loop Header: Depth=1
	v_ashrrev_i32_e32 v3, 31, v2
	v_lshl_add_u64 v[6:7], v[2:3], 3, s[22:23]
	flat_load_dwordx2 v[6:7], v[6:7]
	v_add_u32_e32 v5, 64, v5
	v_cmp_le_i32_e32 vcc, s17, v5
	v_add_u32_e32 v2, s7, v2
	s_or_b64 s[20:21], vcc, s[20:21]
	s_waitcnt vmcnt(0) lgkmcnt(0)
	ds_write_b64 v4, v[6:7]
	v_add_u32_e32 v4, 0x200, v4
	s_andn2_b64 exec, exec, s[20:21]
	s_cbranch_execnz .LBB15_2
.LBB15_3:
	s_or_b64 exec, exec, s[18:19]
	s_cmp_ge_i32 s6, s16
	s_waitcnt lgkmcnt(0)
	; wave barrier
	s_cbranch_scc1 .LBB15_21
; %bb.4:
	s_load_dword s7, s[0:1], 0x48
	s_lshl_b64 s[0:1], s[14:15], 3
	s_add_u32 s18, s12, s0
	s_addc_u32 s19, s13, s1
	s_mul_i32 s0, s10, s3
	s_mul_hi_u32 s1, s10, s2
	s_add_i32 s0, s1, s0
	s_mul_i32 s1, s11, s2
	s_add_i32 s1, s0, s1
	s_mul_i32 s0, s10, s2
	s_lshl_b64 s[0:1], s[0:1], 3
	s_add_u32 s0, s8, s0
	s_addc_u32 s1, s9, s1
	v_lshrrev_b32_e32 v3, 3, v0
	v_mbcnt_lo_u32_b32 v4, -1, 0
	s_cmp_gt_i32 s17, 1
	v_mbcnt_hi_u32_b32 v11, -1, v4
	v_or_b32_e32 v13, 0x4000, v3
	v_mov_b32_e32 v3, 0x80
	s_cselect_b64 s[2:3], -1, 0
	v_cmp_eq_u32_e64 s[8:9], 0, v0
	s_waitcnt lgkmcnt(0)
	v_mul_lo_u32 v10, v0, s7
	s_lshl_b32 s20, s7, 6
	v_mov_b32_e32 v2, 0
	v_and_b32_e32 v12, 63, v11
	v_lshl_or_b32 v14, v11, 2, v3
	s_branch .LBB15_6
.LBB15_5:                               ;   in Loop: Header=BB15_6 Depth=1
	s_or_b64 exec, exec, s[12:13]
	s_add_i32 s6, s6, 64
	s_cmp_ge_i32 s6, s16
	s_cbranch_scc1 .LBB15_21
.LBB15_6:                               ; =>This Loop Header: Depth=1
                                        ;     Child Loop BB15_8 Depth 2
                                        ;     Child Loop BB15_20 Depth 2
	s_ashr_i32 s7, s6, 31
	s_lshl_b64 s[10:11], s[6:7], 3
	s_add_u32 s10, s18, s10
	v_mov_b32_e32 v3, v2
	s_addc_u32 s11, s19, s11
	v_mov_b64_e32 v[4:5], v[2:3]
	s_and_saveexec_b64 s[12:13], s[4:5]
	s_cbranch_execz .LBB15_10
; %bb.7:                                ;   in Loop: Header=BB15_6 Depth=1
	v_mov_b32_e32 v4, 0
	s_mov_b64 s[14:15], 0
	v_mov_b32_e32 v6, v10
	v_mov_b32_e32 v3, v1
	;; [unrolled: 1-line block ×4, first 2 shown]
.LBB15_8:                               ;   Parent Loop BB15_6 Depth=1
                                        ; =>  This Inner Loop Header: Depth=2
	v_ashrrev_i32_e32 v7, 31, v6
	v_lshl_add_u64 v[16:17], v[6:7], 3, s[10:11]
	flat_load_dwordx2 v[16:17], v[16:17]
	ds_read_b64 v[18:19], v3
	v_add_u32_e32 v8, 64, v8
	v_cmp_le_i32_e32 vcc, s17, v8
	v_add_u32_e32 v3, 0x200, v3
	v_add_u32_e32 v6, s20, v6
	s_or_b64 s[14:15], vcc, s[14:15]
	s_waitcnt vmcnt(0) lgkmcnt(0)
	v_pk_mul_f32 v[20:21], v[16:17], v[18:19] op_sel:[1,1] op_sel_hi:[0,1]
	v_pk_fma_f32 v[22:23], v[16:17], v[18:19], v[20:21] neg_lo:[0,0,1] neg_hi:[0,0,1]
	v_pk_fma_f32 v[16:17], v[16:17], v[18:19], v[20:21] op_sel_hi:[1,0,1]
	s_nop 0
	v_mov_b32_e32 v23, v17
	v_pk_add_f32 v[4:5], v[4:5], v[22:23]
	s_andn2_b64 exec, exec, s[14:15]
	s_cbranch_execnz .LBB15_8
; %bb.9:                                ;   in Loop: Header=BB15_6 Depth=1
	s_or_b64 exec, exec, s[14:15]
.LBB15_10:                              ;   in Loop: Header=BB15_6 Depth=1
	s_or_b64 exec, exec, s[12:13]
	s_and_b64 vcc, exec, s[2:3]
	s_cbranch_vccz .LBB15_15
; %bb.11:                               ;   in Loop: Header=BB15_6 Depth=1
	v_cmp_ne_u32_e32 vcc, 63, v12
	s_nop 1
	v_addc_co_u32_e32 v3, vcc, 0, v11, vcc
	v_lshlrev_b32_e32 v3, 2, v3
	ds_bpermute_b32 v6, v3, v4
	ds_bpermute_b32 v7, v3, v5
	v_cmp_gt_u32_e32 vcc, 62, v12
	s_waitcnt lgkmcnt(0)
	v_pk_add_f32 v[6:7], v[4:5], v[6:7]
	v_cndmask_b32_e64 v3, 0, 2, vcc
	v_add_lshl_u32 v3, v3, v11, 2
	ds_bpermute_b32 v8, v3, v6
	ds_bpermute_b32 v9, v3, v7
	v_cmp_gt_u32_e32 vcc, 60, v12
	s_waitcnt lgkmcnt(0)
	v_pk_add_f32 v[6:7], v[6:7], v[8:9]
	v_cndmask_b32_e64 v3, 0, 4, vcc
	v_add_lshl_u32 v3, v3, v11, 2
	ds_bpermute_b32 v8, v3, v6
	ds_bpermute_b32 v9, v3, v7
	v_cmp_gt_u32_e32 vcc, 56, v12
	s_waitcnt lgkmcnt(0)
	v_pk_add_f32 v[6:7], v[6:7], v[8:9]
	v_cndmask_b32_e64 v3, 0, 8, vcc
	v_add_lshl_u32 v3, v3, v11, 2
	ds_bpermute_b32 v8, v3, v6
	ds_bpermute_b32 v9, v3, v7
	v_cmp_gt_u32_e32 vcc, 48, v12
	s_waitcnt lgkmcnt(0)
	v_pk_add_f32 v[6:7], v[6:7], v[8:9]
	v_cndmask_b32_e64 v3, 0, 16, vcc
	v_add_lshl_u32 v3, v3, v11, 2
	ds_bpermute_b32 v8, v3, v6
	ds_bpermute_b32 v9, v3, v7
	s_waitcnt lgkmcnt(0)
	v_pk_add_f32 v[6:7], v[6:7], v[8:9]
	ds_bpermute_b32 v8, v14, v6
	ds_bpermute_b32 v9, v14, v7
	s_waitcnt lgkmcnt(0)
	v_pk_add_f32 v[6:7], v[6:7], v[8:9]
	s_and_saveexec_b64 s[12:13], s[8:9]
; %bb.12:                               ;   in Loop: Header=BB15_6 Depth=1
	ds_write2_b32 v13, v6, v7 offset1:1
; %bb.13:                               ;   in Loop: Header=BB15_6 Depth=1
	s_or_b64 exec, exec, s[12:13]
	s_waitcnt lgkmcnt(0)
	; wave barrier
	s_mov_b64 s[12:13], s[8:9]
.LBB15_14:                              ;   in Loop: Header=BB15_6 Depth=1
	v_mov_b64_e32 v[4:5], v[6:7]
	s_and_saveexec_b64 s[14:15], s[12:13]
	s_cbranch_execnz .LBB15_17
	s_branch .LBB15_18
.LBB15_15:                              ;   in Loop: Header=BB15_6 Depth=1
	s_mov_b64 s[12:13], 0
                                        ; implicit-def: $vgpr6_vgpr7
	s_cbranch_execz .LBB15_14
; %bb.16:                               ;   in Loop: Header=BB15_6 Depth=1
	s_andn2_b64 s[12:13], s[12:13], exec
	s_and_b64 s[14:15], s[8:9], exec
	s_or_b64 s[12:13], s[12:13], s[14:15]
	s_and_saveexec_b64 s[14:15], s[12:13]
.LBB15_17:                              ;   in Loop: Header=BB15_6 Depth=1
	ds_write_b64 v2, v[4:5] offset:16384
.LBB15_18:                              ;   in Loop: Header=BB15_6 Depth=1
	s_or_b64 exec, exec, s[14:15]
	s_waitcnt lgkmcnt(0)
	; wave barrier
	s_and_saveexec_b64 s[12:13], s[4:5]
	s_cbranch_execz .LBB15_5
; %bb.19:                               ;   in Loop: Header=BB15_6 Depth=1
	global_load_dwordx2 v[6:7], v2, s[0:1]
	ds_read_b64 v[8:9], v2 offset:16384
	s_mov_b64 s[14:15], 0
	v_mov_b32_e32 v3, v1
	v_mov_b32_e32 v4, v10
	s_waitcnt vmcnt(0) lgkmcnt(0)
	v_mul_f32_e32 v5, v6, v8
	v_mul_f32_e32 v15, v6, v9
	v_fma_f32 v6, v7, v9, -v5
	v_fma_f32 v8, v8, -v7, -v15
	v_mov_b32_e32 v9, v8
	v_mov_b32_e32 v7, v6
	;; [unrolled: 1-line block ×3, first 2 shown]
.LBB15_20:                              ;   Parent Loop BB15_6 Depth=1
                                        ; =>  This Inner Loop Header: Depth=2
	v_ashrrev_i32_e32 v5, 31, v4
	v_lshl_add_u64 v[16:17], v[4:5], 3, s[10:11]
	flat_load_dwordx2 v[18:19], v[16:17]
	ds_read_b64 v[20:21], v3
	v_add_u32_e32 v15, 64, v15
	v_cmp_le_i32_e32 vcc, s17, v15
	v_add_u32_e32 v3, 0x200, v3
	v_add_u32_e32 v4, s20, v4
	s_waitcnt lgkmcnt(0)
	v_pk_mul_f32 v[22:23], v[6:7], v[20:21]
	s_or_b64 s[14:15], vcc, s[14:15]
	v_pk_fma_f32 v[24:25], v[8:9], v[20:21], v[22:23] op_sel:[0,1,0] op_sel_hi:[1,0,1]
	v_pk_fma_f32 v[20:21], v[8:9], v[20:21], v[22:23] op_sel:[0,1,0] op_sel_hi:[1,0,1] neg_lo:[0,0,1] neg_hi:[0,0,1]
	s_nop 0
	v_mov_b32_e32 v25, v21
	s_waitcnt vmcnt(0)
	v_pk_add_f32 v[18:19], v[18:19], v[24:25]
	flat_store_dwordx2 v[16:17], v[18:19]
	s_andn2_b64 exec, exec, s[14:15]
	s_cbranch_execnz .LBB15_20
	s_branch .LBB15_5
.LBB15_21:
	s_endpgm
	.section	.rodata,"a",@progbits
	.p2align	6, 0x0
	.amdhsa_kernel _ZN9rocsolver6v33100L23larf_right_kernel_smallILi64E19rocblas_complex_numIfEiPKPS3_EEvT1_S7_T2_lS7_lPKT0_lS8_lS7_l
		.amdhsa_group_segment_fixed_size 16392
		.amdhsa_private_segment_fixed_size 0
		.amdhsa_kernarg_size 88
		.amdhsa_user_sgpr_count 2
		.amdhsa_user_sgpr_dispatch_ptr 0
		.amdhsa_user_sgpr_queue_ptr 0
		.amdhsa_user_sgpr_kernarg_segment_ptr 1
		.amdhsa_user_sgpr_dispatch_id 0
		.amdhsa_user_sgpr_kernarg_preload_length 0
		.amdhsa_user_sgpr_kernarg_preload_offset 0
		.amdhsa_user_sgpr_private_segment_size 0
		.amdhsa_uses_dynamic_stack 0
		.amdhsa_enable_private_segment 0
		.amdhsa_system_sgpr_workgroup_id_x 1
		.amdhsa_system_sgpr_workgroup_id_y 1
		.amdhsa_system_sgpr_workgroup_id_z 0
		.amdhsa_system_sgpr_workgroup_info 0
		.amdhsa_system_vgpr_workitem_id 0
		.amdhsa_next_free_vgpr 129
		.amdhsa_next_free_sgpr 96
		.amdhsa_accum_offset 28
		.amdhsa_reserve_vcc 1
		.amdhsa_float_round_mode_32 0
		.amdhsa_float_round_mode_16_64 0
		.amdhsa_float_denorm_mode_32 3
		.amdhsa_float_denorm_mode_16_64 3
		.amdhsa_dx10_clamp 1
		.amdhsa_ieee_mode 1
		.amdhsa_fp16_overflow 0
		.amdhsa_tg_split 0
		.amdhsa_exception_fp_ieee_invalid_op 0
		.amdhsa_exception_fp_denorm_src 0
		.amdhsa_exception_fp_ieee_div_zero 0
		.amdhsa_exception_fp_ieee_overflow 0
		.amdhsa_exception_fp_ieee_underflow 0
		.amdhsa_exception_fp_ieee_inexact 0
		.amdhsa_exception_int_div_zero 0
	.end_amdhsa_kernel
	.section	.text._ZN9rocsolver6v33100L23larf_right_kernel_smallILi64E19rocblas_complex_numIfEiPKPS3_EEvT1_S7_T2_lS7_lPKT0_lS8_lS7_l,"axG",@progbits,_ZN9rocsolver6v33100L23larf_right_kernel_smallILi64E19rocblas_complex_numIfEiPKPS3_EEvT1_S7_T2_lS7_lPKT0_lS8_lS7_l,comdat
.Lfunc_end15:
	.size	_ZN9rocsolver6v33100L23larf_right_kernel_smallILi64E19rocblas_complex_numIfEiPKPS3_EEvT1_S7_T2_lS7_lPKT0_lS8_lS7_l, .Lfunc_end15-_ZN9rocsolver6v33100L23larf_right_kernel_smallILi64E19rocblas_complex_numIfEiPKPS3_EEvT1_S7_T2_lS7_lPKT0_lS8_lS7_l
                                        ; -- End function
	.set _ZN9rocsolver6v33100L23larf_right_kernel_smallILi64E19rocblas_complex_numIfEiPKPS3_EEvT1_S7_T2_lS7_lPKT0_lS8_lS7_l.num_vgpr, 26
	.set _ZN9rocsolver6v33100L23larf_right_kernel_smallILi64E19rocblas_complex_numIfEiPKPS3_EEvT1_S7_T2_lS7_lPKT0_lS8_lS7_l.num_agpr, 0
	.set _ZN9rocsolver6v33100L23larf_right_kernel_smallILi64E19rocblas_complex_numIfEiPKPS3_EEvT1_S7_T2_lS7_lPKT0_lS8_lS7_l.numbered_sgpr, 28
	.set _ZN9rocsolver6v33100L23larf_right_kernel_smallILi64E19rocblas_complex_numIfEiPKPS3_EEvT1_S7_T2_lS7_lPKT0_lS8_lS7_l.num_named_barrier, 0
	.set _ZN9rocsolver6v33100L23larf_right_kernel_smallILi64E19rocblas_complex_numIfEiPKPS3_EEvT1_S7_T2_lS7_lPKT0_lS8_lS7_l.private_seg_size, 0
	.set _ZN9rocsolver6v33100L23larf_right_kernel_smallILi64E19rocblas_complex_numIfEiPKPS3_EEvT1_S7_T2_lS7_lPKT0_lS8_lS7_l.uses_vcc, 1
	.set _ZN9rocsolver6v33100L23larf_right_kernel_smallILi64E19rocblas_complex_numIfEiPKPS3_EEvT1_S7_T2_lS7_lPKT0_lS8_lS7_l.uses_flat_scratch, 0
	.set _ZN9rocsolver6v33100L23larf_right_kernel_smallILi64E19rocblas_complex_numIfEiPKPS3_EEvT1_S7_T2_lS7_lPKT0_lS8_lS7_l.has_dyn_sized_stack, 0
	.set _ZN9rocsolver6v33100L23larf_right_kernel_smallILi64E19rocblas_complex_numIfEiPKPS3_EEvT1_S7_T2_lS7_lPKT0_lS8_lS7_l.has_recursion, 0
	.set _ZN9rocsolver6v33100L23larf_right_kernel_smallILi64E19rocblas_complex_numIfEiPKPS3_EEvT1_S7_T2_lS7_lPKT0_lS8_lS7_l.has_indirect_call, 0
	.section	.AMDGPU.csdata,"",@progbits
; Kernel info:
; codeLenInByte = 1124
; TotalNumSgprs: 34
; NumVgprs: 26
; NumAgprs: 0
; TotalNumVgprs: 26
; ScratchSize: 0
; MemoryBound: 0
; FloatMode: 240
; IeeeMode: 1
; LDSByteSize: 16392 bytes/workgroup (compile time only)
; SGPRBlocks: 12
; VGPRBlocks: 16
; NumSGPRsForWavesPerEU: 102
; NumVGPRsForWavesPerEU: 129
; AccumOffset: 28
; Occupancy: 3
; WaveLimiterHint : 1
; COMPUTE_PGM_RSRC2:SCRATCH_EN: 0
; COMPUTE_PGM_RSRC2:USER_SGPR: 2
; COMPUTE_PGM_RSRC2:TRAP_HANDLER: 0
; COMPUTE_PGM_RSRC2:TGID_X_EN: 1
; COMPUTE_PGM_RSRC2:TGID_Y_EN: 1
; COMPUTE_PGM_RSRC2:TGID_Z_EN: 0
; COMPUTE_PGM_RSRC2:TIDIG_COMP_CNT: 0
; COMPUTE_PGM_RSRC3_GFX90A:ACCUM_OFFSET: 6
; COMPUTE_PGM_RSRC3_GFX90A:TG_SPLIT: 0
	.section	.text._ZN9rocsolver6v33100L23larf_right_kernel_smallILi128E19rocblas_complex_numIfEiPKPS3_EEvT1_S7_T2_lS7_lPKT0_lS8_lS7_l,"axG",@progbits,_ZN9rocsolver6v33100L23larf_right_kernel_smallILi128E19rocblas_complex_numIfEiPKPS3_EEvT1_S7_T2_lS7_lPKT0_lS8_lS7_l,comdat
	.globl	_ZN9rocsolver6v33100L23larf_right_kernel_smallILi128E19rocblas_complex_numIfEiPKPS3_EEvT1_S7_T2_lS7_lPKT0_lS8_lS7_l ; -- Begin function _ZN9rocsolver6v33100L23larf_right_kernel_smallILi128E19rocblas_complex_numIfEiPKPS3_EEvT1_S7_T2_lS7_lPKT0_lS8_lS7_l
	.p2align	8
	.type	_ZN9rocsolver6v33100L23larf_right_kernel_smallILi128E19rocblas_complex_numIfEiPKPS3_EEvT1_S7_T2_lS7_lPKT0_lS8_lS7_l,@function
_ZN9rocsolver6v33100L23larf_right_kernel_smallILi128E19rocblas_complex_numIfEiPKPS3_EEvT1_S7_T2_lS7_lPKT0_lS8_lS7_l: ; @_ZN9rocsolver6v33100L23larf_right_kernel_smallILi128E19rocblas_complex_numIfEiPKPS3_EEvT1_S7_T2_lS7_lPKT0_lS8_lS7_l
; %bb.0:
	s_load_dwordx8 s[8:15], s[0:1], 0x28
	s_load_dwordx2 s[18:19], s[0:1], 0x0
	s_mov_b32 s16, s3
	s_ashr_i32 s3, s2, 31
	s_lshl_b64 s[20:21], s[2:3], 3
	s_waitcnt lgkmcnt(0)
	s_add_u32 s4, s12, s20
	s_addc_u32 s5, s13, s21
	s_load_dwordx2 s[4:5], s[4:5], 0x0
	v_cmp_gt_i32_e64 s[6:7], s19, v0
	v_lshlrev_b32_e32 v1, 3, v0
	s_and_saveexec_b64 s[12:13], s[6:7]
	s_cbranch_execz .LBB16_3
; %bb.1:
	s_load_dwordx4 s[24:27], s[0:1], 0x8
	s_load_dword s17, s[0:1], 0x18
	v_lshlrev_b32_e32 v4, 3, v0
	v_mov_b32_e32 v5, v0
	s_waitcnt lgkmcnt(0)
	s_add_u32 s20, s24, s20
	s_addc_u32 s21, s25, s21
	s_load_dwordx2 s[22:23], s[20:21], 0x0
	s_lshl_b64 s[24:25], s[26:27], 3
	v_mul_lo_u32 v2, v0, s17
	s_mov_b64 s[20:21], 0
	s_waitcnt lgkmcnt(0)
	s_add_u32 s22, s22, s24
	s_addc_u32 s23, s23, s25
	s_sub_i32 s24, 1, s19
	s_mul_i32 s24, s17, s24
	s_cmp_lt_i32 s17, 1
	s_cselect_b32 s24, s24, 0
	s_lshl_b32 s17, s17, 7
	v_add_u32_e32 v2, s24, v2
.LBB16_2:                               ; =>This Inner Loop Header: Depth=1
	v_ashrrev_i32_e32 v3, 31, v2
	v_lshl_add_u64 v[6:7], v[2:3], 3, s[22:23]
	flat_load_dwordx2 v[6:7], v[6:7]
	v_add_u32_e32 v5, 0x80, v5
	v_cmp_le_i32_e32 vcc, s19, v5
	v_add_u32_e32 v2, s17, v2
	s_or_b64 s[20:21], vcc, s[20:21]
	s_waitcnt vmcnt(0) lgkmcnt(0)
	ds_write_b64 v4, v[6:7]
	v_add_u32_e32 v4, 0x400, v4
	s_andn2_b64 exec, exec, s[20:21]
	s_cbranch_execnz .LBB16_2
.LBB16_3:
	s_or_b64 exec, exec, s[12:13]
	s_cmp_ge_i32 s16, s18
	s_waitcnt lgkmcnt(0)
	s_barrier
	s_cbranch_scc1 .LBB16_23
; %bb.4:
	s_load_dword s12, s[0:1], 0x48
	s_lshl_b64 s[0:1], s[14:15], 3
	s_add_u32 s22, s4, s0
	s_addc_u32 s23, s5, s1
	s_mul_i32 s0, s10, s3
	s_mul_hi_u32 s1, s10, s2
	s_add_i32 s0, s1, s0
	s_mul_i32 s1, s11, s2
	s_add_i32 s1, s0, s1
	s_mul_i32 s0, s10, s2
	s_lshl_b64 s[0:1], s[0:1], 3
	s_add_u32 s0, s8, s0
	s_addc_u32 s1, s9, s1
	v_lshrrev_b32_e32 v3, 3, v0
	v_mbcnt_lo_u32_b32 v4, -1, 0
	s_cmp_gt_i32 s19, 1
	v_and_b32_e32 v2, 63, v0
	v_mbcnt_hi_u32_b32 v11, -1, v4
	v_or_b32_e32 v13, 0x4000, v3
	v_mov_b32_e32 v3, 0x80
	s_cselect_b64 s[8:9], -1, 0
	v_cmp_eq_u32_e64 s[2:3], 0, v2
	v_cmp_eq_u32_e64 s[4:5], 0, v0
	s_waitcnt lgkmcnt(0)
	v_mul_lo_u32 v10, v0, s12
	s_lshl_b32 s24, s12, 7
	v_mov_b32_e32 v2, 0
	v_and_b32_e32 v12, 63, v11
	v_lshl_or_b32 v14, v11, 2, v3
	s_branch .LBB16_6
.LBB16_5:                               ;   in Loop: Header=BB16_6 Depth=1
	s_or_b64 exec, exec, s[12:13]
	s_add_i32 s16, s16, 64
	s_cmp_ge_i32 s16, s18
	s_cbranch_scc1 .LBB16_23
.LBB16_6:                               ; =>This Loop Header: Depth=1
                                        ;     Child Loop BB16_8 Depth 2
                                        ;     Child Loop BB16_22 Depth 2
	s_ashr_i32 s17, s16, 31
	s_lshl_b64 s[10:11], s[16:17], 3
	s_add_u32 s10, s22, s10
	v_mov_b32_e32 v3, v2
	s_addc_u32 s11, s23, s11
	v_mov_b64_e32 v[4:5], v[2:3]
	s_and_saveexec_b64 s[12:13], s[6:7]
	s_cbranch_execz .LBB16_10
; %bb.7:                                ;   in Loop: Header=BB16_6 Depth=1
	v_mov_b32_e32 v4, 0
	s_mov_b64 s[14:15], 0
	v_mov_b32_e32 v6, v10
	v_mov_b32_e32 v3, v1
	;; [unrolled: 1-line block ×4, first 2 shown]
.LBB16_8:                               ;   Parent Loop BB16_6 Depth=1
                                        ; =>  This Inner Loop Header: Depth=2
	v_ashrrev_i32_e32 v7, 31, v6
	v_lshl_add_u64 v[16:17], v[6:7], 3, s[10:11]
	flat_load_dwordx2 v[16:17], v[16:17]
	ds_read_b64 v[18:19], v3
	v_add_u32_e32 v8, 0x80, v8
	v_cmp_le_i32_e32 vcc, s19, v8
	v_add_u32_e32 v3, 0x400, v3
	v_add_u32_e32 v6, s24, v6
	s_or_b64 s[14:15], vcc, s[14:15]
	s_waitcnt vmcnt(0) lgkmcnt(0)
	v_mul_f32_e32 v7, v17, v19
	v_mul_f32_e32 v21, v16, v19
	v_fma_f32 v20, v16, v18, -v7
	v_fmac_f32_e32 v21, v17, v18
	v_pk_add_f32 v[4:5], v[4:5], v[20:21]
	s_andn2_b64 exec, exec, s[14:15]
	s_cbranch_execnz .LBB16_8
; %bb.9:                                ;   in Loop: Header=BB16_6 Depth=1
	s_or_b64 exec, exec, s[14:15]
.LBB16_10:                              ;   in Loop: Header=BB16_6 Depth=1
	s_or_b64 exec, exec, s[12:13]
	s_and_b64 vcc, exec, s[8:9]
	s_cbranch_vccz .LBB16_17
; %bb.11:                               ;   in Loop: Header=BB16_6 Depth=1
	v_cmp_ne_u32_e32 vcc, 63, v12
	s_nop 1
	v_addc_co_u32_e32 v3, vcc, 0, v11, vcc
	v_lshlrev_b32_e32 v3, 2, v3
	ds_bpermute_b32 v6, v3, v4
	ds_bpermute_b32 v7, v3, v5
	v_cmp_gt_u32_e32 vcc, 62, v12
	s_waitcnt lgkmcnt(0)
	v_pk_add_f32 v[6:7], v[4:5], v[6:7]
	v_cndmask_b32_e64 v3, 0, 2, vcc
	v_add_lshl_u32 v3, v3, v11, 2
	ds_bpermute_b32 v8, v3, v6
	ds_bpermute_b32 v9, v3, v7
	v_cmp_gt_u32_e32 vcc, 60, v12
	s_waitcnt lgkmcnt(0)
	v_pk_add_f32 v[6:7], v[6:7], v[8:9]
	v_cndmask_b32_e64 v3, 0, 4, vcc
	v_add_lshl_u32 v3, v3, v11, 2
	;; [unrolled: 7-line block ×4, first 2 shown]
	ds_bpermute_b32 v8, v3, v6
	ds_bpermute_b32 v9, v3, v7
	s_waitcnt lgkmcnt(0)
	v_pk_add_f32 v[6:7], v[6:7], v[8:9]
	ds_bpermute_b32 v8, v14, v6
	ds_bpermute_b32 v9, v14, v7
	s_waitcnt lgkmcnt(0)
	v_pk_add_f32 v[8:9], v[6:7], v[8:9]
	s_and_saveexec_b64 s[12:13], s[2:3]
; %bb.12:                               ;   in Loop: Header=BB16_6 Depth=1
	ds_write2_b32 v13, v8, v9 offset1:1
; %bb.13:                               ;   in Loop: Header=BB16_6 Depth=1
	s_or_b64 exec, exec, s[12:13]
	s_mov_b64 s[14:15], 0
	s_mov_b64 s[12:13], 0
	s_waitcnt lgkmcnt(0)
	s_barrier
                                        ; implicit-def: $vgpr6_vgpr7
	s_and_saveexec_b64 s[20:21], s[4:5]
	s_xor_b64 s[20:21], exec, s[20:21]
	s_cbranch_execz .LBB16_15
; %bb.14:                               ;   in Loop: Header=BB16_6 Depth=1
	ds_read_b64 v[6:7], v2 offset:16392
	s_mov_b64 s[12:13], exec
	s_waitcnt lgkmcnt(0)
	v_pk_add_f32 v[6:7], v[8:9], v[6:7]
.LBB16_15:                              ;   in Loop: Header=BB16_6 Depth=1
	s_or_b64 exec, exec, s[20:21]
	s_and_b64 vcc, exec, s[14:15]
	s_cbranch_vccnz .LBB16_18
.LBB16_16:                              ;   in Loop: Header=BB16_6 Depth=1
	v_mov_b64_e32 v[4:5], v[6:7]
	s_and_saveexec_b64 s[14:15], s[12:13]
	s_cbranch_execnz .LBB16_19
	s_branch .LBB16_20
.LBB16_17:                              ;   in Loop: Header=BB16_6 Depth=1
	s_mov_b64 s[12:13], 0
                                        ; implicit-def: $vgpr6_vgpr7
	s_cbranch_execz .LBB16_16
.LBB16_18:                              ;   in Loop: Header=BB16_6 Depth=1
	s_andn2_b64 s[12:13], s[12:13], exec
	s_and_b64 s[14:15], s[4:5], exec
	s_or_b64 s[12:13], s[12:13], s[14:15]
	s_and_saveexec_b64 s[14:15], s[12:13]
.LBB16_19:                              ;   in Loop: Header=BB16_6 Depth=1
	ds_write_b64 v2, v[4:5] offset:16384
.LBB16_20:                              ;   in Loop: Header=BB16_6 Depth=1
	s_or_b64 exec, exec, s[14:15]
	s_waitcnt lgkmcnt(0)
	s_barrier
	s_and_saveexec_b64 s[12:13], s[6:7]
	s_cbranch_execz .LBB16_5
; %bb.21:                               ;   in Loop: Header=BB16_6 Depth=1
	global_load_dwordx2 v[6:7], v2, s[0:1]
	ds_read_b64 v[8:9], v2 offset:16384
	s_mov_b64 s[14:15], 0
	v_mov_b32_e32 v3, v1
	v_mov_b32_e32 v4, v10
	s_waitcnt vmcnt(0) lgkmcnt(0)
	v_mul_f32_e32 v5, v6, v8
	v_mul_f32_e32 v15, v6, v9
	v_fma_f32 v6, v7, v9, -v5
	v_fma_f32 v8, v8, -v7, -v15
	v_mov_b32_e32 v9, v8
	v_mov_b32_e32 v7, v6
	;; [unrolled: 1-line block ×3, first 2 shown]
.LBB16_22:                              ;   Parent Loop BB16_6 Depth=1
                                        ; =>  This Inner Loop Header: Depth=2
	v_ashrrev_i32_e32 v5, 31, v4
	v_lshl_add_u64 v[16:17], v[4:5], 3, s[10:11]
	flat_load_dwordx2 v[18:19], v[16:17]
	ds_read_b64 v[20:21], v3
	v_add_u32_e32 v15, 0x80, v15
	v_cmp_le_i32_e32 vcc, s19, v15
	v_add_u32_e32 v3, 0x400, v3
	v_add_u32_e32 v4, s24, v4
	s_waitcnt lgkmcnt(0)
	v_pk_mul_f32 v[22:23], v[6:7], v[20:21]
	s_or_b64 s[14:15], vcc, s[14:15]
	v_pk_fma_f32 v[24:25], v[8:9], v[20:21], v[22:23] op_sel:[0,1,0] op_sel_hi:[1,0,1]
	v_pk_fma_f32 v[20:21], v[8:9], v[20:21], v[22:23] op_sel:[0,1,0] op_sel_hi:[1,0,1] neg_lo:[0,0,1] neg_hi:[0,0,1]
	s_nop 0
	v_mov_b32_e32 v25, v21
	s_waitcnt vmcnt(0)
	v_pk_add_f32 v[18:19], v[18:19], v[24:25]
	flat_store_dwordx2 v[16:17], v[18:19]
	s_andn2_b64 exec, exec, s[14:15]
	s_cbranch_execnz .LBB16_22
	s_branch .LBB16_5
.LBB16_23:
	s_endpgm
	.section	.rodata,"a",@progbits
	.p2align	6, 0x0
	.amdhsa_kernel _ZN9rocsolver6v33100L23larf_right_kernel_smallILi128E19rocblas_complex_numIfEiPKPS3_EEvT1_S7_T2_lS7_lPKT0_lS8_lS7_l
		.amdhsa_group_segment_fixed_size 16400
		.amdhsa_private_segment_fixed_size 0
		.amdhsa_kernarg_size 88
		.amdhsa_user_sgpr_count 2
		.amdhsa_user_sgpr_dispatch_ptr 0
		.amdhsa_user_sgpr_queue_ptr 0
		.amdhsa_user_sgpr_kernarg_segment_ptr 1
		.amdhsa_user_sgpr_dispatch_id 0
		.amdhsa_user_sgpr_kernarg_preload_length 0
		.amdhsa_user_sgpr_kernarg_preload_offset 0
		.amdhsa_user_sgpr_private_segment_size 0
		.amdhsa_uses_dynamic_stack 0
		.amdhsa_enable_private_segment 0
		.amdhsa_system_sgpr_workgroup_id_x 1
		.amdhsa_system_sgpr_workgroup_id_y 1
		.amdhsa_system_sgpr_workgroup_id_z 0
		.amdhsa_system_sgpr_workgroup_info 0
		.amdhsa_system_vgpr_workitem_id 0
		.amdhsa_next_free_vgpr 81
		.amdhsa_next_free_sgpr 96
		.amdhsa_accum_offset 28
		.amdhsa_reserve_vcc 1
		.amdhsa_float_round_mode_32 0
		.amdhsa_float_round_mode_16_64 0
		.amdhsa_float_denorm_mode_32 3
		.amdhsa_float_denorm_mode_16_64 3
		.amdhsa_dx10_clamp 1
		.amdhsa_ieee_mode 1
		.amdhsa_fp16_overflow 0
		.amdhsa_tg_split 0
		.amdhsa_exception_fp_ieee_invalid_op 0
		.amdhsa_exception_fp_denorm_src 0
		.amdhsa_exception_fp_ieee_div_zero 0
		.amdhsa_exception_fp_ieee_overflow 0
		.amdhsa_exception_fp_ieee_underflow 0
		.amdhsa_exception_fp_ieee_inexact 0
		.amdhsa_exception_int_div_zero 0
	.end_amdhsa_kernel
	.section	.text._ZN9rocsolver6v33100L23larf_right_kernel_smallILi128E19rocblas_complex_numIfEiPKPS3_EEvT1_S7_T2_lS7_lPKT0_lS8_lS7_l,"axG",@progbits,_ZN9rocsolver6v33100L23larf_right_kernel_smallILi128E19rocblas_complex_numIfEiPKPS3_EEvT1_S7_T2_lS7_lPKT0_lS8_lS7_l,comdat
.Lfunc_end16:
	.size	_ZN9rocsolver6v33100L23larf_right_kernel_smallILi128E19rocblas_complex_numIfEiPKPS3_EEvT1_S7_T2_lS7_lPKT0_lS8_lS7_l, .Lfunc_end16-_ZN9rocsolver6v33100L23larf_right_kernel_smallILi128E19rocblas_complex_numIfEiPKPS3_EEvT1_S7_T2_lS7_lPKT0_lS8_lS7_l
                                        ; -- End function
	.set _ZN9rocsolver6v33100L23larf_right_kernel_smallILi128E19rocblas_complex_numIfEiPKPS3_EEvT1_S7_T2_lS7_lPKT0_lS8_lS7_l.num_vgpr, 26
	.set _ZN9rocsolver6v33100L23larf_right_kernel_smallILi128E19rocblas_complex_numIfEiPKPS3_EEvT1_S7_T2_lS7_lPKT0_lS8_lS7_l.num_agpr, 0
	.set _ZN9rocsolver6v33100L23larf_right_kernel_smallILi128E19rocblas_complex_numIfEiPKPS3_EEvT1_S7_T2_lS7_lPKT0_lS8_lS7_l.numbered_sgpr, 28
	.set _ZN9rocsolver6v33100L23larf_right_kernel_smallILi128E19rocblas_complex_numIfEiPKPS3_EEvT1_S7_T2_lS7_lPKT0_lS8_lS7_l.num_named_barrier, 0
	.set _ZN9rocsolver6v33100L23larf_right_kernel_smallILi128E19rocblas_complex_numIfEiPKPS3_EEvT1_S7_T2_lS7_lPKT0_lS8_lS7_l.private_seg_size, 0
	.set _ZN9rocsolver6v33100L23larf_right_kernel_smallILi128E19rocblas_complex_numIfEiPKPS3_EEvT1_S7_T2_lS7_lPKT0_lS8_lS7_l.uses_vcc, 1
	.set _ZN9rocsolver6v33100L23larf_right_kernel_smallILi128E19rocblas_complex_numIfEiPKPS3_EEvT1_S7_T2_lS7_lPKT0_lS8_lS7_l.uses_flat_scratch, 0
	.set _ZN9rocsolver6v33100L23larf_right_kernel_smallILi128E19rocblas_complex_numIfEiPKPS3_EEvT1_S7_T2_lS7_lPKT0_lS8_lS7_l.has_dyn_sized_stack, 0
	.set _ZN9rocsolver6v33100L23larf_right_kernel_smallILi128E19rocblas_complex_numIfEiPKPS3_EEvT1_S7_T2_lS7_lPKT0_lS8_lS7_l.has_recursion, 0
	.set _ZN9rocsolver6v33100L23larf_right_kernel_smallILi128E19rocblas_complex_numIfEiPKPS3_EEvT1_S7_T2_lS7_lPKT0_lS8_lS7_l.has_indirect_call, 0
	.section	.AMDGPU.csdata,"",@progbits
; Kernel info:
; codeLenInByte = 1200
; TotalNumSgprs: 34
; NumVgprs: 26
; NumAgprs: 0
; TotalNumVgprs: 26
; ScratchSize: 0
; MemoryBound: 0
; FloatMode: 240
; IeeeMode: 1
; LDSByteSize: 16400 bytes/workgroup (compile time only)
; SGPRBlocks: 12
; VGPRBlocks: 10
; NumSGPRsForWavesPerEU: 102
; NumVGPRsForWavesPerEU: 81
; AccumOffset: 28
; Occupancy: 5
; WaveLimiterHint : 1
; COMPUTE_PGM_RSRC2:SCRATCH_EN: 0
; COMPUTE_PGM_RSRC2:USER_SGPR: 2
; COMPUTE_PGM_RSRC2:TRAP_HANDLER: 0
; COMPUTE_PGM_RSRC2:TGID_X_EN: 1
; COMPUTE_PGM_RSRC2:TGID_Y_EN: 1
; COMPUTE_PGM_RSRC2:TGID_Z_EN: 0
; COMPUTE_PGM_RSRC2:TIDIG_COMP_CNT: 0
; COMPUTE_PGM_RSRC3_GFX90A:ACCUM_OFFSET: 6
; COMPUTE_PGM_RSRC3_GFX90A:TG_SPLIT: 0
	.section	.text._ZN9rocsolver6v33100L23larf_right_kernel_smallILi256E19rocblas_complex_numIfEiPKPS3_EEvT1_S7_T2_lS7_lPKT0_lS8_lS7_l,"axG",@progbits,_ZN9rocsolver6v33100L23larf_right_kernel_smallILi256E19rocblas_complex_numIfEiPKPS3_EEvT1_S7_T2_lS7_lPKT0_lS8_lS7_l,comdat
	.globl	_ZN9rocsolver6v33100L23larf_right_kernel_smallILi256E19rocblas_complex_numIfEiPKPS3_EEvT1_S7_T2_lS7_lPKT0_lS8_lS7_l ; -- Begin function _ZN9rocsolver6v33100L23larf_right_kernel_smallILi256E19rocblas_complex_numIfEiPKPS3_EEvT1_S7_T2_lS7_lPKT0_lS8_lS7_l
	.p2align	8
	.type	_ZN9rocsolver6v33100L23larf_right_kernel_smallILi256E19rocblas_complex_numIfEiPKPS3_EEvT1_S7_T2_lS7_lPKT0_lS8_lS7_l,@function
_ZN9rocsolver6v33100L23larf_right_kernel_smallILi256E19rocblas_complex_numIfEiPKPS3_EEvT1_S7_T2_lS7_lPKT0_lS8_lS7_l: ; @_ZN9rocsolver6v33100L23larf_right_kernel_smallILi256E19rocblas_complex_numIfEiPKPS3_EEvT1_S7_T2_lS7_lPKT0_lS8_lS7_l
; %bb.0:
	s_load_dwordx8 s[8:15], s[0:1], 0x28
	s_load_dwordx2 s[18:19], s[0:1], 0x0
	s_mov_b32 s16, s3
	s_ashr_i32 s3, s2, 31
	s_lshl_b64 s[20:21], s[2:3], 3
	s_waitcnt lgkmcnt(0)
	s_add_u32 s4, s12, s20
	s_addc_u32 s5, s13, s21
	s_load_dwordx2 s[4:5], s[4:5], 0x0
	v_cmp_gt_i32_e64 s[6:7], s19, v0
	v_lshlrev_b32_e32 v1, 3, v0
	s_and_saveexec_b64 s[12:13], s[6:7]
	s_cbranch_execz .LBB17_3
; %bb.1:
	s_load_dwordx4 s[24:27], s[0:1], 0x8
	s_load_dword s17, s[0:1], 0x18
	v_lshlrev_b32_e32 v4, 3, v0
	v_mov_b32_e32 v5, v0
	s_waitcnt lgkmcnt(0)
	s_add_u32 s20, s24, s20
	s_addc_u32 s21, s25, s21
	s_load_dwordx2 s[22:23], s[20:21], 0x0
	s_lshl_b64 s[24:25], s[26:27], 3
	v_mul_lo_u32 v2, v0, s17
	s_mov_b64 s[20:21], 0
	s_waitcnt lgkmcnt(0)
	s_add_u32 s22, s22, s24
	s_addc_u32 s23, s23, s25
	s_sub_i32 s24, 1, s19
	s_mul_i32 s24, s17, s24
	s_cmp_lt_i32 s17, 1
	s_cselect_b32 s24, s24, 0
	s_lshl_b32 s17, s17, 8
	v_add_u32_e32 v2, s24, v2
.LBB17_2:                               ; =>This Inner Loop Header: Depth=1
	v_ashrrev_i32_e32 v3, 31, v2
	v_lshl_add_u64 v[6:7], v[2:3], 3, s[22:23]
	flat_load_dwordx2 v[6:7], v[6:7]
	v_add_u32_e32 v5, 0x100, v5
	v_cmp_le_i32_e32 vcc, s19, v5
	v_add_u32_e32 v2, s17, v2
	s_or_b64 s[20:21], vcc, s[20:21]
	s_waitcnt vmcnt(0) lgkmcnt(0)
	ds_write_b64 v4, v[6:7]
	v_add_u32_e32 v4, 0x800, v4
	s_andn2_b64 exec, exec, s[20:21]
	s_cbranch_execnz .LBB17_2
.LBB17_3:
	s_or_b64 exec, exec, s[12:13]
	s_cmp_ge_i32 s16, s18
	s_waitcnt lgkmcnt(0)
	s_barrier
	s_cbranch_scc1 .LBB17_23
; %bb.4:
	s_load_dword s12, s[0:1], 0x48
	s_lshl_b64 s[0:1], s[14:15], 3
	s_add_u32 s22, s4, s0
	s_addc_u32 s23, s5, s1
	s_mul_i32 s0, s10, s3
	s_mul_hi_u32 s1, s10, s2
	s_add_i32 s0, s1, s0
	s_mul_i32 s1, s11, s2
	s_add_i32 s1, s0, s1
	s_mul_i32 s0, s10, s2
	s_lshl_b64 s[0:1], s[0:1], 3
	s_add_u32 s0, s8, s0
	s_addc_u32 s1, s9, s1
	v_lshrrev_b32_e32 v3, 3, v0
	v_mbcnt_lo_u32_b32 v4, -1, 0
	s_cmp_gt_i32 s19, 1
	v_and_b32_e32 v2, 63, v0
	v_mbcnt_hi_u32_b32 v11, -1, v4
	v_or_b32_e32 v13, 0x4000, v3
	v_mov_b32_e32 v3, 0x80
	s_cselect_b64 s[8:9], -1, 0
	v_cmp_eq_u32_e64 s[2:3], 0, v2
	v_cmp_eq_u32_e64 s[4:5], 0, v0
	s_waitcnt lgkmcnt(0)
	v_mul_lo_u32 v10, v0, s12
	s_lshl_b32 s24, s12, 8
	v_mov_b32_e32 v2, 0
	v_and_b32_e32 v12, 63, v11
	v_mov_b32_e32 v14, 0x4008
	v_lshl_or_b32 v15, v11, 2, v3
	s_branch .LBB17_6
.LBB17_5:                               ;   in Loop: Header=BB17_6 Depth=1
	s_or_b64 exec, exec, s[12:13]
	s_add_i32 s16, s16, 64
	s_cmp_ge_i32 s16, s18
	s_cbranch_scc1 .LBB17_23
.LBB17_6:                               ; =>This Loop Header: Depth=1
                                        ;     Child Loop BB17_8 Depth 2
                                        ;     Child Loop BB17_22 Depth 2
	s_ashr_i32 s17, s16, 31
	s_lshl_b64 s[10:11], s[16:17], 3
	s_add_u32 s10, s22, s10
	v_mov_b32_e32 v3, v2
	s_addc_u32 s11, s23, s11
	v_mov_b64_e32 v[4:5], v[2:3]
	s_and_saveexec_b64 s[12:13], s[6:7]
	s_cbranch_execz .LBB17_10
; %bb.7:                                ;   in Loop: Header=BB17_6 Depth=1
	v_mov_b32_e32 v5, 0
	s_mov_b64 s[14:15], 0
	v_mov_b32_e32 v6, v10
	v_mov_b32_e32 v3, v1
	;; [unrolled: 1-line block ×4, first 2 shown]
.LBB17_8:                               ;   Parent Loop BB17_6 Depth=1
                                        ; =>  This Inner Loop Header: Depth=2
	v_ashrrev_i32_e32 v7, 31, v6
	v_lshl_add_u64 v[16:17], v[6:7], 3, s[10:11]
	flat_load_dwordx2 v[16:17], v[16:17]
	ds_read_b64 v[18:19], v3
	v_add_u32_e32 v8, 0x100, v8
	v_cmp_le_i32_e32 vcc, s19, v8
	v_add_u32_e32 v3, 0x800, v3
	v_add_u32_e32 v6, s24, v6
	s_or_b64 s[14:15], vcc, s[14:15]
	s_waitcnt vmcnt(0) lgkmcnt(0)
	v_mul_f32_e32 v7, v17, v19
	v_mul_f32_e32 v9, v16, v19
	v_fma_f32 v7, v16, v18, -v7
	v_fmac_f32_e32 v9, v17, v18
	v_add_f32_e32 v4, v4, v7
	v_add_f32_e32 v5, v5, v9
	s_andn2_b64 exec, exec, s[14:15]
	s_cbranch_execnz .LBB17_8
; %bb.9:                                ;   in Loop: Header=BB17_6 Depth=1
	s_or_b64 exec, exec, s[14:15]
.LBB17_10:                              ;   in Loop: Header=BB17_6 Depth=1
	s_or_b64 exec, exec, s[12:13]
	s_and_b64 vcc, exec, s[8:9]
	s_cbranch_vccz .LBB17_17
; %bb.11:                               ;   in Loop: Header=BB17_6 Depth=1
	v_cmp_ne_u32_e32 vcc, 63, v12
	s_nop 1
	v_addc_co_u32_e32 v3, vcc, 0, v11, vcc
	v_lshlrev_b32_e32 v3, 2, v3
	ds_bpermute_b32 v6, v3, v4
	ds_bpermute_b32 v7, v3, v5
	v_cmp_gt_u32_e32 vcc, 62, v12
	s_waitcnt lgkmcnt(0)
	v_pk_add_f32 v[6:7], v[4:5], v[6:7]
	v_cndmask_b32_e64 v3, 0, 2, vcc
	v_add_lshl_u32 v3, v3, v11, 2
	ds_bpermute_b32 v8, v3, v6
	ds_bpermute_b32 v9, v3, v7
	v_cmp_gt_u32_e32 vcc, 60, v12
	s_waitcnt lgkmcnt(0)
	v_pk_add_f32 v[6:7], v[6:7], v[8:9]
	v_cndmask_b32_e64 v3, 0, 4, vcc
	v_add_lshl_u32 v3, v3, v11, 2
	ds_bpermute_b32 v8, v3, v6
	ds_bpermute_b32 v9, v3, v7
	v_cmp_gt_u32_e32 vcc, 56, v12
	s_waitcnt lgkmcnt(0)
	v_pk_add_f32 v[6:7], v[6:7], v[8:9]
	v_cndmask_b32_e64 v3, 0, 8, vcc
	v_add_lshl_u32 v3, v3, v11, 2
	ds_bpermute_b32 v8, v3, v6
	ds_bpermute_b32 v9, v3, v7
	v_cmp_gt_u32_e32 vcc, 48, v12
	s_waitcnt lgkmcnt(0)
	v_pk_add_f32 v[6:7], v[6:7], v[8:9]
	v_cndmask_b32_e64 v3, 0, 16, vcc
	v_add_lshl_u32 v3, v3, v11, 2
	ds_bpermute_b32 v8, v3, v6
	ds_bpermute_b32 v9, v3, v7
	s_waitcnt lgkmcnt(0)
	v_pk_add_f32 v[6:7], v[6:7], v[8:9]
	ds_bpermute_b32 v8, v15, v6
	ds_bpermute_b32 v9, v15, v7
	s_waitcnt lgkmcnt(0)
	v_pk_add_f32 v[8:9], v[6:7], v[8:9]
	s_and_saveexec_b64 s[12:13], s[2:3]
; %bb.12:                               ;   in Loop: Header=BB17_6 Depth=1
	ds_write2_b32 v13, v8, v9 offset1:1
; %bb.13:                               ;   in Loop: Header=BB17_6 Depth=1
	s_or_b64 exec, exec, s[12:13]
	s_mov_b64 s[14:15], 0
	s_mov_b64 s[12:13], 0
	s_waitcnt lgkmcnt(0)
	s_barrier
                                        ; implicit-def: $vgpr6_vgpr7
	s_and_saveexec_b64 s[20:21], s[4:5]
	s_xor_b64 s[20:21], exec, s[20:21]
	s_cbranch_execz .LBB17_15
; %bb.14:                               ;   in Loop: Header=BB17_6 Depth=1
	ds_read2_b64 v[16:19], v14 offset1:1
	ds_read_b64 v[6:7], v2 offset:16408
	s_mov_b64 s[12:13], exec
	s_waitcnt lgkmcnt(0)
	v_pk_add_f32 v[8:9], v[8:9], v[16:17]
	s_nop 0
	v_pk_add_f32 v[8:9], v[8:9], v[18:19]
	s_waitcnt lgkmcnt(0)
	v_pk_add_f32 v[6:7], v[8:9], v[6:7]
.LBB17_15:                              ;   in Loop: Header=BB17_6 Depth=1
	s_or_b64 exec, exec, s[20:21]
	s_and_b64 vcc, exec, s[14:15]
	s_cbranch_vccnz .LBB17_18
.LBB17_16:                              ;   in Loop: Header=BB17_6 Depth=1
	v_mov_b64_e32 v[4:5], v[6:7]
	s_and_saveexec_b64 s[14:15], s[12:13]
	s_cbranch_execnz .LBB17_19
	s_branch .LBB17_20
.LBB17_17:                              ;   in Loop: Header=BB17_6 Depth=1
	s_mov_b64 s[12:13], 0
                                        ; implicit-def: $vgpr6_vgpr7
	s_cbranch_execz .LBB17_16
.LBB17_18:                              ;   in Loop: Header=BB17_6 Depth=1
	s_andn2_b64 s[12:13], s[12:13], exec
	s_and_b64 s[14:15], s[4:5], exec
	s_or_b64 s[12:13], s[12:13], s[14:15]
	s_and_saveexec_b64 s[14:15], s[12:13]
.LBB17_19:                              ;   in Loop: Header=BB17_6 Depth=1
	ds_write_b64 v2, v[4:5] offset:16384
.LBB17_20:                              ;   in Loop: Header=BB17_6 Depth=1
	s_or_b64 exec, exec, s[14:15]
	s_waitcnt lgkmcnt(0)
	s_barrier
	s_and_saveexec_b64 s[12:13], s[6:7]
	s_cbranch_execz .LBB17_5
; %bb.21:                               ;   in Loop: Header=BB17_6 Depth=1
	global_load_dwordx2 v[6:7], v2, s[0:1]
	ds_read_b64 v[8:9], v2 offset:16384
	s_mov_b64 s[14:15], 0
	v_mov_b32_e32 v3, v1
	v_mov_b32_e32 v4, v10
	s_waitcnt vmcnt(0) lgkmcnt(0)
	v_mul_f32_e32 v5, v6, v8
	v_mul_f32_e32 v16, v6, v9
	v_fma_f32 v6, v7, v9, -v5
	v_fma_f32 v8, v8, -v7, -v16
	v_mov_b32_e32 v9, v8
	v_mov_b32_e32 v7, v6
	;; [unrolled: 1-line block ×3, first 2 shown]
.LBB17_22:                              ;   Parent Loop BB17_6 Depth=1
                                        ; =>  This Inner Loop Header: Depth=2
	v_ashrrev_i32_e32 v5, 31, v4
	v_lshl_add_u64 v[18:19], v[4:5], 3, s[10:11]
	flat_load_dwordx2 v[20:21], v[18:19]
	ds_read_b64 v[22:23], v3
	v_add_u32_e32 v16, 0x100, v16
	v_cmp_le_i32_e32 vcc, s19, v16
	v_add_u32_e32 v3, 0x800, v3
	v_add_u32_e32 v4, s24, v4
	s_waitcnt lgkmcnt(0)
	v_pk_mul_f32 v[24:25], v[6:7], v[22:23]
	s_or_b64 s[14:15], vcc, s[14:15]
	v_pk_fma_f32 v[26:27], v[8:9], v[22:23], v[24:25] op_sel:[0,1,0] op_sel_hi:[1,0,1]
	v_pk_fma_f32 v[22:23], v[8:9], v[22:23], v[24:25] op_sel:[0,1,0] op_sel_hi:[1,0,1] neg_lo:[0,0,1] neg_hi:[0,0,1]
	s_nop 0
	v_mov_b32_e32 v27, v23
	s_waitcnt vmcnt(0)
	v_pk_add_f32 v[20:21], v[20:21], v[26:27]
	flat_store_dwordx2 v[18:19], v[20:21]
	s_andn2_b64 exec, exec, s[14:15]
	s_cbranch_execnz .LBB17_22
	s_branch .LBB17_5
.LBB17_23:
	s_endpgm
	.section	.rodata,"a",@progbits
	.p2align	6, 0x0
	.amdhsa_kernel _ZN9rocsolver6v33100L23larf_right_kernel_smallILi256E19rocblas_complex_numIfEiPKPS3_EEvT1_S7_T2_lS7_lPKT0_lS8_lS7_l
		.amdhsa_group_segment_fixed_size 16416
		.amdhsa_private_segment_fixed_size 0
		.amdhsa_kernarg_size 88
		.amdhsa_user_sgpr_count 2
		.amdhsa_user_sgpr_dispatch_ptr 0
		.amdhsa_user_sgpr_queue_ptr 0
		.amdhsa_user_sgpr_kernarg_segment_ptr 1
		.amdhsa_user_sgpr_dispatch_id 0
		.amdhsa_user_sgpr_kernarg_preload_length 0
		.amdhsa_user_sgpr_kernarg_preload_offset 0
		.amdhsa_user_sgpr_private_segment_size 0
		.amdhsa_uses_dynamic_stack 0
		.amdhsa_enable_private_segment 0
		.amdhsa_system_sgpr_workgroup_id_x 1
		.amdhsa_system_sgpr_workgroup_id_y 1
		.amdhsa_system_sgpr_workgroup_id_z 0
		.amdhsa_system_sgpr_workgroup_info 0
		.amdhsa_system_vgpr_workitem_id 0
		.amdhsa_next_free_vgpr 28
		.amdhsa_next_free_sgpr 28
		.amdhsa_accum_offset 28
		.amdhsa_reserve_vcc 1
		.amdhsa_float_round_mode_32 0
		.amdhsa_float_round_mode_16_64 0
		.amdhsa_float_denorm_mode_32 3
		.amdhsa_float_denorm_mode_16_64 3
		.amdhsa_dx10_clamp 1
		.amdhsa_ieee_mode 1
		.amdhsa_fp16_overflow 0
		.amdhsa_tg_split 0
		.amdhsa_exception_fp_ieee_invalid_op 0
		.amdhsa_exception_fp_denorm_src 0
		.amdhsa_exception_fp_ieee_div_zero 0
		.amdhsa_exception_fp_ieee_overflow 0
		.amdhsa_exception_fp_ieee_underflow 0
		.amdhsa_exception_fp_ieee_inexact 0
		.amdhsa_exception_int_div_zero 0
	.end_amdhsa_kernel
	.section	.text._ZN9rocsolver6v33100L23larf_right_kernel_smallILi256E19rocblas_complex_numIfEiPKPS3_EEvT1_S7_T2_lS7_lPKT0_lS8_lS7_l,"axG",@progbits,_ZN9rocsolver6v33100L23larf_right_kernel_smallILi256E19rocblas_complex_numIfEiPKPS3_EEvT1_S7_T2_lS7_lPKT0_lS8_lS7_l,comdat
.Lfunc_end17:
	.size	_ZN9rocsolver6v33100L23larf_right_kernel_smallILi256E19rocblas_complex_numIfEiPKPS3_EEvT1_S7_T2_lS7_lPKT0_lS8_lS7_l, .Lfunc_end17-_ZN9rocsolver6v33100L23larf_right_kernel_smallILi256E19rocblas_complex_numIfEiPKPS3_EEvT1_S7_T2_lS7_lPKT0_lS8_lS7_l
                                        ; -- End function
	.set _ZN9rocsolver6v33100L23larf_right_kernel_smallILi256E19rocblas_complex_numIfEiPKPS3_EEvT1_S7_T2_lS7_lPKT0_lS8_lS7_l.num_vgpr, 28
	.set _ZN9rocsolver6v33100L23larf_right_kernel_smallILi256E19rocblas_complex_numIfEiPKPS3_EEvT1_S7_T2_lS7_lPKT0_lS8_lS7_l.num_agpr, 0
	.set _ZN9rocsolver6v33100L23larf_right_kernel_smallILi256E19rocblas_complex_numIfEiPKPS3_EEvT1_S7_T2_lS7_lPKT0_lS8_lS7_l.numbered_sgpr, 28
	.set _ZN9rocsolver6v33100L23larf_right_kernel_smallILi256E19rocblas_complex_numIfEiPKPS3_EEvT1_S7_T2_lS7_lPKT0_lS8_lS7_l.num_named_barrier, 0
	.set _ZN9rocsolver6v33100L23larf_right_kernel_smallILi256E19rocblas_complex_numIfEiPKPS3_EEvT1_S7_T2_lS7_lPKT0_lS8_lS7_l.private_seg_size, 0
	.set _ZN9rocsolver6v33100L23larf_right_kernel_smallILi256E19rocblas_complex_numIfEiPKPS3_EEvT1_S7_T2_lS7_lPKT0_lS8_lS7_l.uses_vcc, 1
	.set _ZN9rocsolver6v33100L23larf_right_kernel_smallILi256E19rocblas_complex_numIfEiPKPS3_EEvT1_S7_T2_lS7_lPKT0_lS8_lS7_l.uses_flat_scratch, 0
	.set _ZN9rocsolver6v33100L23larf_right_kernel_smallILi256E19rocblas_complex_numIfEiPKPS3_EEvT1_S7_T2_lS7_lPKT0_lS8_lS7_l.has_dyn_sized_stack, 0
	.set _ZN9rocsolver6v33100L23larf_right_kernel_smallILi256E19rocblas_complex_numIfEiPKPS3_EEvT1_S7_T2_lS7_lPKT0_lS8_lS7_l.has_recursion, 0
	.set _ZN9rocsolver6v33100L23larf_right_kernel_smallILi256E19rocblas_complex_numIfEiPKPS3_EEvT1_S7_T2_lS7_lPKT0_lS8_lS7_l.has_indirect_call, 0
	.section	.AMDGPU.csdata,"",@progbits
; Kernel info:
; codeLenInByte = 1240
; TotalNumSgprs: 34
; NumVgprs: 28
; NumAgprs: 0
; TotalNumVgprs: 28
; ScratchSize: 0
; MemoryBound: 0
; FloatMode: 240
; IeeeMode: 1
; LDSByteSize: 16416 bytes/workgroup (compile time only)
; SGPRBlocks: 4
; VGPRBlocks: 3
; NumSGPRsForWavesPerEU: 34
; NumVGPRsForWavesPerEU: 28
; AccumOffset: 28
; Occupancy: 8
; WaveLimiterHint : 1
; COMPUTE_PGM_RSRC2:SCRATCH_EN: 0
; COMPUTE_PGM_RSRC2:USER_SGPR: 2
; COMPUTE_PGM_RSRC2:TRAP_HANDLER: 0
; COMPUTE_PGM_RSRC2:TGID_X_EN: 1
; COMPUTE_PGM_RSRC2:TGID_Y_EN: 1
; COMPUTE_PGM_RSRC2:TGID_Z_EN: 0
; COMPUTE_PGM_RSRC2:TIDIG_COMP_CNT: 0
; COMPUTE_PGM_RSRC3_GFX90A:ACCUM_OFFSET: 6
; COMPUTE_PGM_RSRC3_GFX90A:TG_SPLIT: 0
	.section	.text._ZN9rocsolver6v33100L23larf_right_kernel_smallILi512E19rocblas_complex_numIfEiPKPS3_EEvT1_S7_T2_lS7_lPKT0_lS8_lS7_l,"axG",@progbits,_ZN9rocsolver6v33100L23larf_right_kernel_smallILi512E19rocblas_complex_numIfEiPKPS3_EEvT1_S7_T2_lS7_lPKT0_lS8_lS7_l,comdat
	.globl	_ZN9rocsolver6v33100L23larf_right_kernel_smallILi512E19rocblas_complex_numIfEiPKPS3_EEvT1_S7_T2_lS7_lPKT0_lS8_lS7_l ; -- Begin function _ZN9rocsolver6v33100L23larf_right_kernel_smallILi512E19rocblas_complex_numIfEiPKPS3_EEvT1_S7_T2_lS7_lPKT0_lS8_lS7_l
	.p2align	8
	.type	_ZN9rocsolver6v33100L23larf_right_kernel_smallILi512E19rocblas_complex_numIfEiPKPS3_EEvT1_S7_T2_lS7_lPKT0_lS8_lS7_l,@function
_ZN9rocsolver6v33100L23larf_right_kernel_smallILi512E19rocblas_complex_numIfEiPKPS3_EEvT1_S7_T2_lS7_lPKT0_lS8_lS7_l: ; @_ZN9rocsolver6v33100L23larf_right_kernel_smallILi512E19rocblas_complex_numIfEiPKPS3_EEvT1_S7_T2_lS7_lPKT0_lS8_lS7_l
; %bb.0:
	s_load_dwordx8 s[8:15], s[0:1], 0x28
	s_load_dwordx2 s[18:19], s[0:1], 0x0
	s_mov_b32 s16, s3
	s_ashr_i32 s3, s2, 31
	s_lshl_b64 s[20:21], s[2:3], 3
	s_waitcnt lgkmcnt(0)
	s_add_u32 s4, s12, s20
	s_addc_u32 s5, s13, s21
	s_load_dwordx2 s[4:5], s[4:5], 0x0
	v_cmp_gt_i32_e64 s[6:7], s19, v0
	v_lshlrev_b32_e32 v1, 3, v0
	s_and_saveexec_b64 s[12:13], s[6:7]
	s_cbranch_execz .LBB18_3
; %bb.1:
	s_load_dwordx4 s[24:27], s[0:1], 0x8
	s_load_dword s17, s[0:1], 0x18
	v_lshlrev_b32_e32 v4, 3, v0
	v_mov_b32_e32 v5, v0
	s_waitcnt lgkmcnt(0)
	s_add_u32 s20, s24, s20
	s_addc_u32 s21, s25, s21
	s_load_dwordx2 s[22:23], s[20:21], 0x0
	s_lshl_b64 s[24:25], s[26:27], 3
	v_mul_lo_u32 v2, v0, s17
	s_mov_b64 s[20:21], 0
	s_waitcnt lgkmcnt(0)
	s_add_u32 s22, s22, s24
	s_addc_u32 s23, s23, s25
	s_sub_i32 s24, 1, s19
	s_mul_i32 s24, s17, s24
	s_cmp_lt_i32 s17, 1
	s_cselect_b32 s24, s24, 0
	s_lshl_b32 s17, s17, 9
	v_add_u32_e32 v2, s24, v2
.LBB18_2:                               ; =>This Inner Loop Header: Depth=1
	v_ashrrev_i32_e32 v3, 31, v2
	v_lshl_add_u64 v[6:7], v[2:3], 3, s[22:23]
	flat_load_dwordx2 v[6:7], v[6:7]
	v_add_u32_e32 v5, 0x200, v5
	v_cmp_le_i32_e32 vcc, s19, v5
	v_add_u32_e32 v2, s17, v2
	s_or_b64 s[20:21], vcc, s[20:21]
	s_waitcnt vmcnt(0) lgkmcnt(0)
	ds_write_b64 v4, v[6:7]
	v_add_u32_e32 v4, 0x1000, v4
	s_andn2_b64 exec, exec, s[20:21]
	s_cbranch_execnz .LBB18_2
.LBB18_3:
	s_or_b64 exec, exec, s[12:13]
	s_cmp_ge_i32 s16, s18
	s_waitcnt lgkmcnt(0)
	s_barrier
	s_cbranch_scc1 .LBB18_23
; %bb.4:
	s_load_dword s12, s[0:1], 0x48
	s_lshl_b64 s[0:1], s[14:15], 3
	s_add_u32 s22, s4, s0
	s_addc_u32 s23, s5, s1
	s_mul_i32 s0, s10, s3
	s_mul_hi_u32 s1, s10, s2
	s_add_i32 s0, s1, s0
	s_mul_i32 s1, s11, s2
	s_add_i32 s1, s0, s1
	s_mul_i32 s0, s10, s2
	s_lshl_b64 s[0:1], s[0:1], 3
	s_add_u32 s0, s8, s0
	s_addc_u32 s1, s9, s1
	v_lshrrev_b32_e32 v3, 3, v0
	v_mbcnt_lo_u32_b32 v4, -1, 0
	s_cmp_gt_i32 s19, 1
	v_and_b32_e32 v2, 63, v0
	v_mbcnt_hi_u32_b32 v11, -1, v4
	v_or_b32_e32 v13, 0x4000, v3
	v_mov_b32_e32 v3, 0x80
	s_cselect_b64 s[8:9], -1, 0
	v_cmp_eq_u32_e64 s[2:3], 0, v2
	v_cmp_eq_u32_e64 s[4:5], 0, v0
	s_waitcnt lgkmcnt(0)
	v_mul_lo_u32 v10, v0, s12
	s_lshl_b32 s24, s12, 9
	v_mov_b32_e32 v2, 0
	v_and_b32_e32 v12, 63, v11
	v_mov_b32_e32 v14, 0x4008
	v_mov_b32_e32 v15, 0x4018
	;; [unrolled: 1-line block ×3, first 2 shown]
	v_lshl_or_b32 v17, v11, 2, v3
	s_branch .LBB18_6
.LBB18_5:                               ;   in Loop: Header=BB18_6 Depth=1
	s_or_b64 exec, exec, s[12:13]
	s_add_i32 s16, s16, 64
	s_cmp_ge_i32 s16, s18
	s_cbranch_scc1 .LBB18_23
.LBB18_6:                               ; =>This Loop Header: Depth=1
                                        ;     Child Loop BB18_8 Depth 2
                                        ;     Child Loop BB18_22 Depth 2
	s_ashr_i32 s17, s16, 31
	s_lshl_b64 s[10:11], s[16:17], 3
	s_add_u32 s10, s22, s10
	v_mov_b32_e32 v3, v2
	s_addc_u32 s11, s23, s11
	v_mov_b64_e32 v[4:5], v[2:3]
	s_and_saveexec_b64 s[12:13], s[6:7]
	s_cbranch_execz .LBB18_10
; %bb.7:                                ;   in Loop: Header=BB18_6 Depth=1
	v_mov_b32_e32 v4, 0
	s_mov_b64 s[14:15], 0
	v_mov_b32_e32 v6, v10
	v_mov_b32_e32 v3, v1
	;; [unrolled: 1-line block ×4, first 2 shown]
.LBB18_8:                               ;   Parent Loop BB18_6 Depth=1
                                        ; =>  This Inner Loop Header: Depth=2
	v_ashrrev_i32_e32 v7, 31, v6
	v_lshl_add_u64 v[18:19], v[6:7], 3, s[10:11]
	flat_load_dwordx2 v[18:19], v[18:19]
	ds_read_b64 v[20:21], v3
	v_add_u32_e32 v8, 0x200, v8
	v_cmp_le_i32_e32 vcc, s19, v8
	v_add_u32_e32 v3, 0x1000, v3
	v_add_u32_e32 v6, s24, v6
	s_or_b64 s[14:15], vcc, s[14:15]
	s_waitcnt vmcnt(0) lgkmcnt(0)
	v_pk_mul_f32 v[22:23], v[18:19], v[20:21] op_sel:[1,1] op_sel_hi:[0,1]
	v_pk_fma_f32 v[24:25], v[18:19], v[20:21], v[22:23] neg_lo:[0,0,1] neg_hi:[0,0,1]
	v_pk_fma_f32 v[18:19], v[18:19], v[20:21], v[22:23] op_sel_hi:[1,0,1]
	s_nop 0
	v_mov_b32_e32 v25, v19
	v_pk_add_f32 v[4:5], v[4:5], v[24:25]
	s_andn2_b64 exec, exec, s[14:15]
	s_cbranch_execnz .LBB18_8
; %bb.9:                                ;   in Loop: Header=BB18_6 Depth=1
	s_or_b64 exec, exec, s[14:15]
.LBB18_10:                              ;   in Loop: Header=BB18_6 Depth=1
	s_or_b64 exec, exec, s[12:13]
	s_and_b64 vcc, exec, s[8:9]
	s_cbranch_vccz .LBB18_17
; %bb.11:                               ;   in Loop: Header=BB18_6 Depth=1
	v_cmp_ne_u32_e32 vcc, 63, v12
	s_nop 1
	v_addc_co_u32_e32 v3, vcc, 0, v11, vcc
	v_lshlrev_b32_e32 v3, 2, v3
	ds_bpermute_b32 v6, v3, v4
	ds_bpermute_b32 v7, v3, v5
	v_cmp_gt_u32_e32 vcc, 62, v12
	s_waitcnt lgkmcnt(0)
	v_pk_add_f32 v[6:7], v[4:5], v[6:7]
	v_cndmask_b32_e64 v3, 0, 2, vcc
	v_add_lshl_u32 v3, v3, v11, 2
	ds_bpermute_b32 v8, v3, v6
	ds_bpermute_b32 v9, v3, v7
	v_cmp_gt_u32_e32 vcc, 60, v12
	s_waitcnt lgkmcnt(0)
	v_pk_add_f32 v[6:7], v[6:7], v[8:9]
	v_cndmask_b32_e64 v3, 0, 4, vcc
	v_add_lshl_u32 v3, v3, v11, 2
	;; [unrolled: 7-line block ×4, first 2 shown]
	ds_bpermute_b32 v8, v3, v6
	ds_bpermute_b32 v9, v3, v7
	s_waitcnt lgkmcnt(0)
	v_pk_add_f32 v[6:7], v[6:7], v[8:9]
	ds_bpermute_b32 v8, v17, v6
	ds_bpermute_b32 v9, v17, v7
	s_waitcnt lgkmcnt(0)
	v_pk_add_f32 v[6:7], v[6:7], v[8:9]
	s_and_saveexec_b64 s[12:13], s[2:3]
; %bb.12:                               ;   in Loop: Header=BB18_6 Depth=1
	ds_write2_b32 v13, v6, v7 offset1:1
; %bb.13:                               ;   in Loop: Header=BB18_6 Depth=1
	s_or_b64 exec, exec, s[12:13]
	s_mov_b64 s[14:15], 0
	s_mov_b64 s[12:13], 0
	s_waitcnt lgkmcnt(0)
	s_barrier
                                        ; implicit-def: $vgpr8_vgpr9
	s_and_saveexec_b64 s[20:21], s[4:5]
	s_xor_b64 s[20:21], exec, s[20:21]
	s_cbranch_execz .LBB18_15
; %bb.14:                               ;   in Loop: Header=BB18_6 Depth=1
	ds_read2_b64 v[18:21], v14 offset1:1
	ds_read2_b64 v[22:25], v15 offset1:1
	;; [unrolled: 1-line block ×3, first 2 shown]
	ds_read_b64 v[8:9], v2 offset:16440
	s_mov_b64 s[12:13], exec
	s_waitcnt lgkmcnt(0)
	v_pk_add_f32 v[6:7], v[6:7], v[18:19]
	s_nop 0
	v_pk_add_f32 v[6:7], v[6:7], v[20:21]
	s_waitcnt lgkmcnt(2)
	v_pk_add_f32 v[6:7], v[6:7], v[22:23]
	s_nop 0
	v_pk_add_f32 v[6:7], v[6:7], v[24:25]
	;; [unrolled: 4-line block ×3, first 2 shown]
	s_waitcnt lgkmcnt(0)
	v_pk_add_f32 v[8:9], v[6:7], v[8:9]
.LBB18_15:                              ;   in Loop: Header=BB18_6 Depth=1
	s_or_b64 exec, exec, s[20:21]
	s_and_b64 vcc, exec, s[14:15]
	s_cbranch_vccnz .LBB18_18
.LBB18_16:                              ;   in Loop: Header=BB18_6 Depth=1
	v_mov_b64_e32 v[4:5], v[8:9]
	s_and_saveexec_b64 s[14:15], s[12:13]
	s_cbranch_execnz .LBB18_19
	s_branch .LBB18_20
.LBB18_17:                              ;   in Loop: Header=BB18_6 Depth=1
	s_mov_b64 s[12:13], 0
                                        ; implicit-def: $vgpr8_vgpr9
	s_cbranch_execz .LBB18_16
.LBB18_18:                              ;   in Loop: Header=BB18_6 Depth=1
	s_andn2_b64 s[12:13], s[12:13], exec
	s_and_b64 s[14:15], s[4:5], exec
	s_or_b64 s[12:13], s[12:13], s[14:15]
	s_and_saveexec_b64 s[14:15], s[12:13]
.LBB18_19:                              ;   in Loop: Header=BB18_6 Depth=1
	ds_write_b64 v2, v[4:5] offset:16384
.LBB18_20:                              ;   in Loop: Header=BB18_6 Depth=1
	s_or_b64 exec, exec, s[14:15]
	s_waitcnt lgkmcnt(0)
	s_barrier
	s_and_saveexec_b64 s[12:13], s[6:7]
	s_cbranch_execz .LBB18_5
; %bb.21:                               ;   in Loop: Header=BB18_6 Depth=1
	global_load_dwordx2 v[6:7], v2, s[0:1]
	ds_read_b64 v[8:9], v2 offset:16384
	s_mov_b64 s[14:15], 0
	v_mov_b32_e32 v3, v1
	v_mov_b32_e32 v4, v10
	s_waitcnt vmcnt(0) lgkmcnt(0)
	v_mul_f32_e32 v5, v6, v8
	v_mul_f32_e32 v18, v6, v9
	v_fma_f32 v6, v7, v9, -v5
	v_fma_f32 v8, v8, -v7, -v18
	v_mov_b32_e32 v9, v8
	v_mov_b32_e32 v7, v6
	;; [unrolled: 1-line block ×3, first 2 shown]
.LBB18_22:                              ;   Parent Loop BB18_6 Depth=1
                                        ; =>  This Inner Loop Header: Depth=2
	v_ashrrev_i32_e32 v5, 31, v4
	v_lshl_add_u64 v[20:21], v[4:5], 3, s[10:11]
	flat_load_dwordx2 v[22:23], v[20:21]
	ds_read_b64 v[24:25], v3
	v_add_u32_e32 v18, 0x200, v18
	v_cmp_le_i32_e32 vcc, s19, v18
	v_add_u32_e32 v3, 0x1000, v3
	v_add_u32_e32 v4, s24, v4
	s_waitcnt lgkmcnt(0)
	v_pk_mul_f32 v[26:27], v[6:7], v[24:25]
	s_or_b64 s[14:15], vcc, s[14:15]
	v_pk_fma_f32 v[28:29], v[8:9], v[24:25], v[26:27] op_sel:[0,1,0] op_sel_hi:[1,0,1]
	v_pk_fma_f32 v[24:25], v[8:9], v[24:25], v[26:27] op_sel:[0,1,0] op_sel_hi:[1,0,1] neg_lo:[0,0,1] neg_hi:[0,0,1]
	s_nop 0
	v_mov_b32_e32 v29, v25
	s_waitcnt vmcnt(0)
	v_pk_add_f32 v[22:23], v[22:23], v[28:29]
	flat_store_dwordx2 v[20:21], v[22:23]
	s_andn2_b64 exec, exec, s[14:15]
	s_cbranch_execnz .LBB18_22
	s_branch .LBB18_5
.LBB18_23:
	s_endpgm
	.section	.rodata,"a",@progbits
	.p2align	6, 0x0
	.amdhsa_kernel _ZN9rocsolver6v33100L23larf_right_kernel_smallILi512E19rocblas_complex_numIfEiPKPS3_EEvT1_S7_T2_lS7_lPKT0_lS8_lS7_l
		.amdhsa_group_segment_fixed_size 16448
		.amdhsa_private_segment_fixed_size 0
		.amdhsa_kernarg_size 88
		.amdhsa_user_sgpr_count 2
		.amdhsa_user_sgpr_dispatch_ptr 0
		.amdhsa_user_sgpr_queue_ptr 0
		.amdhsa_user_sgpr_kernarg_segment_ptr 1
		.amdhsa_user_sgpr_dispatch_id 0
		.amdhsa_user_sgpr_kernarg_preload_length 0
		.amdhsa_user_sgpr_kernarg_preload_offset 0
		.amdhsa_user_sgpr_private_segment_size 0
		.amdhsa_uses_dynamic_stack 0
		.amdhsa_enable_private_segment 0
		.amdhsa_system_sgpr_workgroup_id_x 1
		.amdhsa_system_sgpr_workgroup_id_y 1
		.amdhsa_system_sgpr_workgroup_id_z 0
		.amdhsa_system_sgpr_workgroup_info 0
		.amdhsa_system_vgpr_workitem_id 0
		.amdhsa_next_free_vgpr 30
		.amdhsa_next_free_sgpr 28
		.amdhsa_accum_offset 32
		.amdhsa_reserve_vcc 1
		.amdhsa_float_round_mode_32 0
		.amdhsa_float_round_mode_16_64 0
		.amdhsa_float_denorm_mode_32 3
		.amdhsa_float_denorm_mode_16_64 3
		.amdhsa_dx10_clamp 1
		.amdhsa_ieee_mode 1
		.amdhsa_fp16_overflow 0
		.amdhsa_tg_split 0
		.amdhsa_exception_fp_ieee_invalid_op 0
		.amdhsa_exception_fp_denorm_src 0
		.amdhsa_exception_fp_ieee_div_zero 0
		.amdhsa_exception_fp_ieee_overflow 0
		.amdhsa_exception_fp_ieee_underflow 0
		.amdhsa_exception_fp_ieee_inexact 0
		.amdhsa_exception_int_div_zero 0
	.end_amdhsa_kernel
	.section	.text._ZN9rocsolver6v33100L23larf_right_kernel_smallILi512E19rocblas_complex_numIfEiPKPS3_EEvT1_S7_T2_lS7_lPKT0_lS8_lS7_l,"axG",@progbits,_ZN9rocsolver6v33100L23larf_right_kernel_smallILi512E19rocblas_complex_numIfEiPKPS3_EEvT1_S7_T2_lS7_lPKT0_lS8_lS7_l,comdat
.Lfunc_end18:
	.size	_ZN9rocsolver6v33100L23larf_right_kernel_smallILi512E19rocblas_complex_numIfEiPKPS3_EEvT1_S7_T2_lS7_lPKT0_lS8_lS7_l, .Lfunc_end18-_ZN9rocsolver6v33100L23larf_right_kernel_smallILi512E19rocblas_complex_numIfEiPKPS3_EEvT1_S7_T2_lS7_lPKT0_lS8_lS7_l
                                        ; -- End function
	.set _ZN9rocsolver6v33100L23larf_right_kernel_smallILi512E19rocblas_complex_numIfEiPKPS3_EEvT1_S7_T2_lS7_lPKT0_lS8_lS7_l.num_vgpr, 30
	.set _ZN9rocsolver6v33100L23larf_right_kernel_smallILi512E19rocblas_complex_numIfEiPKPS3_EEvT1_S7_T2_lS7_lPKT0_lS8_lS7_l.num_agpr, 0
	.set _ZN9rocsolver6v33100L23larf_right_kernel_smallILi512E19rocblas_complex_numIfEiPKPS3_EEvT1_S7_T2_lS7_lPKT0_lS8_lS7_l.numbered_sgpr, 28
	.set _ZN9rocsolver6v33100L23larf_right_kernel_smallILi512E19rocblas_complex_numIfEiPKPS3_EEvT1_S7_T2_lS7_lPKT0_lS8_lS7_l.num_named_barrier, 0
	.set _ZN9rocsolver6v33100L23larf_right_kernel_smallILi512E19rocblas_complex_numIfEiPKPS3_EEvT1_S7_T2_lS7_lPKT0_lS8_lS7_l.private_seg_size, 0
	.set _ZN9rocsolver6v33100L23larf_right_kernel_smallILi512E19rocblas_complex_numIfEiPKPS3_EEvT1_S7_T2_lS7_lPKT0_lS8_lS7_l.uses_vcc, 1
	.set _ZN9rocsolver6v33100L23larf_right_kernel_smallILi512E19rocblas_complex_numIfEiPKPS3_EEvT1_S7_T2_lS7_lPKT0_lS8_lS7_l.uses_flat_scratch, 0
	.set _ZN9rocsolver6v33100L23larf_right_kernel_smallILi512E19rocblas_complex_numIfEiPKPS3_EEvT1_S7_T2_lS7_lPKT0_lS8_lS7_l.has_dyn_sized_stack, 0
	.set _ZN9rocsolver6v33100L23larf_right_kernel_smallILi512E19rocblas_complex_numIfEiPKPS3_EEvT1_S7_T2_lS7_lPKT0_lS8_lS7_l.has_recursion, 0
	.set _ZN9rocsolver6v33100L23larf_right_kernel_smallILi512E19rocblas_complex_numIfEiPKPS3_EEvT1_S7_T2_lS7_lPKT0_lS8_lS7_l.has_indirect_call, 0
	.section	.AMDGPU.csdata,"",@progbits
; Kernel info:
; codeLenInByte = 1332
; TotalNumSgprs: 34
; NumVgprs: 30
; NumAgprs: 0
; TotalNumVgprs: 30
; ScratchSize: 0
; MemoryBound: 0
; FloatMode: 240
; IeeeMode: 1
; LDSByteSize: 16448 bytes/workgroup (compile time only)
; SGPRBlocks: 4
; VGPRBlocks: 3
; NumSGPRsForWavesPerEU: 34
; NumVGPRsForWavesPerEU: 30
; AccumOffset: 32
; Occupancy: 8
; WaveLimiterHint : 1
; COMPUTE_PGM_RSRC2:SCRATCH_EN: 0
; COMPUTE_PGM_RSRC2:USER_SGPR: 2
; COMPUTE_PGM_RSRC2:TRAP_HANDLER: 0
; COMPUTE_PGM_RSRC2:TGID_X_EN: 1
; COMPUTE_PGM_RSRC2:TGID_Y_EN: 1
; COMPUTE_PGM_RSRC2:TGID_Z_EN: 0
; COMPUTE_PGM_RSRC2:TIDIG_COMP_CNT: 0
; COMPUTE_PGM_RSRC3_GFX90A:ACCUM_OFFSET: 7
; COMPUTE_PGM_RSRC3_GFX90A:TG_SPLIT: 0
	.section	.text._ZN9rocsolver6v33100L23larf_right_kernel_smallILi1024E19rocblas_complex_numIfEiPKPS3_EEvT1_S7_T2_lS7_lPKT0_lS8_lS7_l,"axG",@progbits,_ZN9rocsolver6v33100L23larf_right_kernel_smallILi1024E19rocblas_complex_numIfEiPKPS3_EEvT1_S7_T2_lS7_lPKT0_lS8_lS7_l,comdat
	.globl	_ZN9rocsolver6v33100L23larf_right_kernel_smallILi1024E19rocblas_complex_numIfEiPKPS3_EEvT1_S7_T2_lS7_lPKT0_lS8_lS7_l ; -- Begin function _ZN9rocsolver6v33100L23larf_right_kernel_smallILi1024E19rocblas_complex_numIfEiPKPS3_EEvT1_S7_T2_lS7_lPKT0_lS8_lS7_l
	.p2align	8
	.type	_ZN9rocsolver6v33100L23larf_right_kernel_smallILi1024E19rocblas_complex_numIfEiPKPS3_EEvT1_S7_T2_lS7_lPKT0_lS8_lS7_l,@function
_ZN9rocsolver6v33100L23larf_right_kernel_smallILi1024E19rocblas_complex_numIfEiPKPS3_EEvT1_S7_T2_lS7_lPKT0_lS8_lS7_l: ; @_ZN9rocsolver6v33100L23larf_right_kernel_smallILi1024E19rocblas_complex_numIfEiPKPS3_EEvT1_S7_T2_lS7_lPKT0_lS8_lS7_l
; %bb.0:
	s_load_dwordx8 s[8:15], s[0:1], 0x28
	s_load_dwordx2 s[18:19], s[0:1], 0x0
	s_mov_b32 s16, s3
	s_ashr_i32 s3, s2, 31
	s_lshl_b64 s[20:21], s[2:3], 3
	s_waitcnt lgkmcnt(0)
	s_add_u32 s4, s12, s20
	s_addc_u32 s5, s13, s21
	s_load_dwordx2 s[4:5], s[4:5], 0x0
	v_cmp_gt_i32_e64 s[6:7], s19, v0
	v_lshlrev_b32_e32 v1, 3, v0
	s_and_saveexec_b64 s[12:13], s[6:7]
	s_cbranch_execz .LBB19_3
; %bb.1:
	s_load_dwordx4 s[24:27], s[0:1], 0x8
	s_load_dword s17, s[0:1], 0x18
	v_lshlrev_b32_e32 v4, 3, v0
	v_mov_b32_e32 v5, v0
	s_waitcnt lgkmcnt(0)
	s_add_u32 s20, s24, s20
	s_addc_u32 s21, s25, s21
	s_load_dwordx2 s[22:23], s[20:21], 0x0
	s_lshl_b64 s[24:25], s[26:27], 3
	v_mul_lo_u32 v2, v0, s17
	s_mov_b64 s[20:21], 0
	s_waitcnt lgkmcnt(0)
	s_add_u32 s22, s22, s24
	s_addc_u32 s23, s23, s25
	s_sub_i32 s24, 1, s19
	s_mul_i32 s24, s17, s24
	s_cmp_lt_i32 s17, 1
	s_cselect_b32 s24, s24, 0
	s_lshl_b32 s17, s17, 10
	v_add_u32_e32 v2, s24, v2
.LBB19_2:                               ; =>This Inner Loop Header: Depth=1
	v_ashrrev_i32_e32 v3, 31, v2
	v_lshl_add_u64 v[6:7], v[2:3], 3, s[22:23]
	flat_load_dwordx2 v[6:7], v[6:7]
	v_add_u32_e32 v5, 0x400, v5
	v_cmp_le_i32_e32 vcc, s19, v5
	v_add_u32_e32 v2, s17, v2
	s_or_b64 s[20:21], vcc, s[20:21]
	s_waitcnt vmcnt(0) lgkmcnt(0)
	ds_write_b64 v4, v[6:7]
	v_add_u32_e32 v4, 0x2000, v4
	s_andn2_b64 exec, exec, s[20:21]
	s_cbranch_execnz .LBB19_2
.LBB19_3:
	s_or_b64 exec, exec, s[12:13]
	s_cmp_ge_i32 s16, s18
	s_waitcnt lgkmcnt(0)
	s_barrier
	s_cbranch_scc1 .LBB19_23
; %bb.4:
	s_load_dword s12, s[0:1], 0x48
	s_lshl_b64 s[0:1], s[14:15], 3
	s_add_u32 s22, s4, s0
	s_addc_u32 s23, s5, s1
	s_mul_i32 s0, s10, s3
	s_mul_hi_u32 s1, s10, s2
	s_add_i32 s0, s1, s0
	s_mul_i32 s1, s11, s2
	s_add_i32 s1, s0, s1
	s_mul_i32 s0, s10, s2
	s_lshl_b64 s[0:1], s[0:1], 3
	s_add_u32 s0, s8, s0
	s_addc_u32 s1, s9, s1
	v_lshrrev_b32_e32 v3, 3, v0
	v_mbcnt_lo_u32_b32 v4, -1, 0
	s_cmp_gt_i32 s19, 1
	v_and_b32_e32 v2, 63, v0
	v_mbcnt_hi_u32_b32 v11, -1, v4
	v_or_b32_e32 v13, 0x4000, v3
	v_mov_b32_e32 v3, 0x80
	s_cselect_b64 s[8:9], -1, 0
	v_cmp_eq_u32_e64 s[2:3], 0, v2
	v_cmp_eq_u32_e64 s[4:5], 0, v0
	s_waitcnt lgkmcnt(0)
	v_mul_lo_u32 v10, v0, s12
	s_lshl_b32 s24, s12, 10
	v_mov_b32_e32 v2, 0
	v_and_b32_e32 v12, 63, v11
	v_mov_b32_e32 v14, 0x4008
	v_mov_b32_e32 v15, 0x4018
	;; [unrolled: 1-line block ×7, first 2 shown]
	v_lshl_or_b32 v21, v11, 2, v3
	s_branch .LBB19_6
.LBB19_5:                               ;   in Loop: Header=BB19_6 Depth=1
	s_or_b64 exec, exec, s[12:13]
	s_add_i32 s16, s16, 64
	s_cmp_ge_i32 s16, s18
	s_cbranch_scc1 .LBB19_23
.LBB19_6:                               ; =>This Loop Header: Depth=1
                                        ;     Child Loop BB19_8 Depth 2
                                        ;     Child Loop BB19_22 Depth 2
	s_ashr_i32 s17, s16, 31
	s_lshl_b64 s[10:11], s[16:17], 3
	s_add_u32 s10, s22, s10
	v_mov_b32_e32 v3, v2
	s_addc_u32 s11, s23, s11
	v_mov_b64_e32 v[4:5], v[2:3]
	s_and_saveexec_b64 s[12:13], s[6:7]
	s_cbranch_execz .LBB19_10
; %bb.7:                                ;   in Loop: Header=BB19_6 Depth=1
	v_mov_b32_e32 v4, 0
	s_mov_b64 s[14:15], 0
	v_mov_b32_e32 v6, v10
	v_mov_b32_e32 v3, v1
	;; [unrolled: 1-line block ×4, first 2 shown]
.LBB19_8:                               ;   Parent Loop BB19_6 Depth=1
                                        ; =>  This Inner Loop Header: Depth=2
	v_ashrrev_i32_e32 v7, 31, v6
	v_lshl_add_u64 v[22:23], v[6:7], 3, s[10:11]
	flat_load_dwordx2 v[22:23], v[22:23]
	ds_read_b64 v[24:25], v3
	v_add_u32_e32 v8, 0x400, v8
	v_cmp_le_i32_e32 vcc, s19, v8
	v_add_u32_e32 v3, 0x2000, v3
	v_add_u32_e32 v6, s24, v6
	s_or_b64 s[14:15], vcc, s[14:15]
	s_waitcnt vmcnt(0) lgkmcnt(0)
	v_pk_mul_f32 v[26:27], v[22:23], v[24:25] op_sel:[1,1] op_sel_hi:[0,1]
	v_pk_fma_f32 v[28:29], v[22:23], v[24:25], v[26:27] neg_lo:[0,0,1] neg_hi:[0,0,1]
	v_pk_fma_f32 v[22:23], v[22:23], v[24:25], v[26:27] op_sel_hi:[1,0,1]
	s_nop 0
	v_mov_b32_e32 v29, v23
	v_pk_add_f32 v[4:5], v[4:5], v[28:29]
	s_andn2_b64 exec, exec, s[14:15]
	s_cbranch_execnz .LBB19_8
; %bb.9:                                ;   in Loop: Header=BB19_6 Depth=1
	s_or_b64 exec, exec, s[14:15]
.LBB19_10:                              ;   in Loop: Header=BB19_6 Depth=1
	s_or_b64 exec, exec, s[12:13]
	s_and_b64 vcc, exec, s[8:9]
	s_cbranch_vccz .LBB19_17
; %bb.11:                               ;   in Loop: Header=BB19_6 Depth=1
	v_cmp_ne_u32_e32 vcc, 63, v12
	s_nop 1
	v_addc_co_u32_e32 v3, vcc, 0, v11, vcc
	v_lshlrev_b32_e32 v3, 2, v3
	ds_bpermute_b32 v6, v3, v4
	ds_bpermute_b32 v7, v3, v5
	v_cmp_gt_u32_e32 vcc, 62, v12
	s_waitcnt lgkmcnt(0)
	v_pk_add_f32 v[6:7], v[4:5], v[6:7]
	v_cndmask_b32_e64 v3, 0, 2, vcc
	v_add_lshl_u32 v3, v3, v11, 2
	ds_bpermute_b32 v8, v3, v6
	ds_bpermute_b32 v9, v3, v7
	v_cmp_gt_u32_e32 vcc, 60, v12
	s_waitcnt lgkmcnt(0)
	v_pk_add_f32 v[6:7], v[6:7], v[8:9]
	v_cndmask_b32_e64 v3, 0, 4, vcc
	v_add_lshl_u32 v3, v3, v11, 2
	;; [unrolled: 7-line block ×4, first 2 shown]
	ds_bpermute_b32 v8, v3, v6
	ds_bpermute_b32 v9, v3, v7
	s_waitcnt lgkmcnt(0)
	v_pk_add_f32 v[6:7], v[6:7], v[8:9]
	ds_bpermute_b32 v8, v21, v6
	ds_bpermute_b32 v9, v21, v7
	s_waitcnt lgkmcnt(0)
	v_pk_add_f32 v[6:7], v[6:7], v[8:9]
	s_and_saveexec_b64 s[12:13], s[2:3]
; %bb.12:                               ;   in Loop: Header=BB19_6 Depth=1
	ds_write2_b32 v13, v6, v7 offset1:1
; %bb.13:                               ;   in Loop: Header=BB19_6 Depth=1
	s_or_b64 exec, exec, s[12:13]
	s_mov_b64 s[14:15], 0
	s_mov_b64 s[12:13], 0
	s_waitcnt lgkmcnt(0)
	s_barrier
                                        ; implicit-def: $vgpr8_vgpr9
	s_and_saveexec_b64 s[20:21], s[4:5]
	s_xor_b64 s[20:21], exec, s[20:21]
	s_cbranch_execz .LBB19_15
; %bb.14:                               ;   in Loop: Header=BB19_6 Depth=1
	ds_read2_b64 v[22:25], v14 offset1:1
	ds_read2_b64 v[26:29], v15 offset1:1
	;; [unrolled: 1-line block ×3, first 2 shown]
	ds_read_b64 v[34:35], v2 offset:16504
	s_mov_b64 s[12:13], exec
	s_waitcnt lgkmcnt(0)
	v_pk_add_f32 v[6:7], v[6:7], v[22:23]
	s_nop 0
	v_pk_add_f32 v[6:7], v[6:7], v[24:25]
	s_waitcnt lgkmcnt(2)
	v_pk_add_f32 v[22:23], v[6:7], v[26:27]
	ds_read2_b64 v[6:9], v17 offset1:1
	v_pk_add_f32 v[22:23], v[22:23], v[28:29]
	s_waitcnt lgkmcnt(2)
	v_pk_add_f32 v[22:23], v[22:23], v[30:31]
	s_nop 0
	v_pk_add_f32 v[26:27], v[22:23], v[32:33]
	ds_read2_b64 v[22:25], v18 offset1:1
	s_waitcnt lgkmcnt(0)
	v_pk_add_f32 v[6:7], v[26:27], v[6:7]
	ds_read2_b64 v[26:29], v19 offset1:1
	v_pk_add_f32 v[30:31], v[6:7], v[8:9]
	ds_read2_b64 v[6:9], v20 offset1:1
	s_waitcnt lgkmcnt(2)
	v_pk_add_f32 v[22:23], v[30:31], v[22:23]
	s_nop 0
	v_pk_add_f32 v[22:23], v[22:23], v[24:25]
	s_waitcnt lgkmcnt(0)
	v_pk_add_f32 v[22:23], v[22:23], v[26:27]
	s_nop 0
	v_pk_add_f32 v[22:23], v[22:23], v[28:29]
	;; [unrolled: 4-line block ×3, first 2 shown]
	s_nop 0
	v_pk_add_f32 v[8:9], v[6:7], v[34:35]
.LBB19_15:                              ;   in Loop: Header=BB19_6 Depth=1
	s_or_b64 exec, exec, s[20:21]
	s_and_b64 vcc, exec, s[14:15]
	s_cbranch_vccnz .LBB19_18
.LBB19_16:                              ;   in Loop: Header=BB19_6 Depth=1
	v_mov_b64_e32 v[4:5], v[8:9]
	s_and_saveexec_b64 s[14:15], s[12:13]
	s_cbranch_execnz .LBB19_19
	s_branch .LBB19_20
.LBB19_17:                              ;   in Loop: Header=BB19_6 Depth=1
	s_mov_b64 s[12:13], 0
                                        ; implicit-def: $vgpr8_vgpr9
	s_cbranch_execz .LBB19_16
.LBB19_18:                              ;   in Loop: Header=BB19_6 Depth=1
	s_andn2_b64 s[12:13], s[12:13], exec
	s_and_b64 s[14:15], s[4:5], exec
	s_or_b64 s[12:13], s[12:13], s[14:15]
	s_and_saveexec_b64 s[14:15], s[12:13]
.LBB19_19:                              ;   in Loop: Header=BB19_6 Depth=1
	ds_write_b64 v2, v[4:5] offset:16384
.LBB19_20:                              ;   in Loop: Header=BB19_6 Depth=1
	s_or_b64 exec, exec, s[14:15]
	s_waitcnt lgkmcnt(0)
	s_barrier
	s_and_saveexec_b64 s[12:13], s[6:7]
	s_cbranch_execz .LBB19_5
; %bb.21:                               ;   in Loop: Header=BB19_6 Depth=1
	global_load_dwordx2 v[6:7], v2, s[0:1]
	ds_read_b64 v[8:9], v2 offset:16384
	s_mov_b64 s[14:15], 0
	v_mov_b32_e32 v3, v1
	v_mov_b32_e32 v4, v10
	s_waitcnt vmcnt(0) lgkmcnt(0)
	v_mul_f32_e32 v5, v6, v8
	v_mul_f32_e32 v22, v6, v9
	v_fma_f32 v6, v7, v9, -v5
	v_fma_f32 v8, v8, -v7, -v22
	v_mov_b32_e32 v9, v8
	v_mov_b32_e32 v7, v6
	;; [unrolled: 1-line block ×3, first 2 shown]
.LBB19_22:                              ;   Parent Loop BB19_6 Depth=1
                                        ; =>  This Inner Loop Header: Depth=2
	v_ashrrev_i32_e32 v5, 31, v4
	v_lshl_add_u64 v[24:25], v[4:5], 3, s[10:11]
	flat_load_dwordx2 v[26:27], v[24:25]
	ds_read_b64 v[28:29], v3
	v_add_u32_e32 v22, 0x400, v22
	v_cmp_le_i32_e32 vcc, s19, v22
	v_add_u32_e32 v3, 0x2000, v3
	v_add_u32_e32 v4, s24, v4
	s_waitcnt lgkmcnt(0)
	v_pk_mul_f32 v[30:31], v[6:7], v[28:29]
	s_or_b64 s[14:15], vcc, s[14:15]
	v_pk_fma_f32 v[32:33], v[8:9], v[28:29], v[30:31] op_sel:[0,1,0] op_sel_hi:[1,0,1]
	v_pk_fma_f32 v[28:29], v[8:9], v[28:29], v[30:31] op_sel:[0,1,0] op_sel_hi:[1,0,1] neg_lo:[0,0,1] neg_hi:[0,0,1]
	s_nop 0
	v_mov_b32_e32 v33, v29
	s_waitcnt vmcnt(0)
	v_pk_add_f32 v[26:27], v[26:27], v[32:33]
	flat_store_dwordx2 v[24:25], v[26:27]
	s_andn2_b64 exec, exec, s[14:15]
	s_cbranch_execnz .LBB19_22
	s_branch .LBB19_5
.LBB19_23:
	s_endpgm
	.section	.rodata,"a",@progbits
	.p2align	6, 0x0
	.amdhsa_kernel _ZN9rocsolver6v33100L23larf_right_kernel_smallILi1024E19rocblas_complex_numIfEiPKPS3_EEvT1_S7_T2_lS7_lPKT0_lS8_lS7_l
		.amdhsa_group_segment_fixed_size 16512
		.amdhsa_private_segment_fixed_size 0
		.amdhsa_kernarg_size 88
		.amdhsa_user_sgpr_count 2
		.amdhsa_user_sgpr_dispatch_ptr 0
		.amdhsa_user_sgpr_queue_ptr 0
		.amdhsa_user_sgpr_kernarg_segment_ptr 1
		.amdhsa_user_sgpr_dispatch_id 0
		.amdhsa_user_sgpr_kernarg_preload_length 0
		.amdhsa_user_sgpr_kernarg_preload_offset 0
		.amdhsa_user_sgpr_private_segment_size 0
		.amdhsa_uses_dynamic_stack 0
		.amdhsa_enable_private_segment 0
		.amdhsa_system_sgpr_workgroup_id_x 1
		.amdhsa_system_sgpr_workgroup_id_y 1
		.amdhsa_system_sgpr_workgroup_id_z 0
		.amdhsa_system_sgpr_workgroup_info 0
		.amdhsa_system_vgpr_workitem_id 0
		.amdhsa_next_free_vgpr 36
		.amdhsa_next_free_sgpr 28
		.amdhsa_accum_offset 36
		.amdhsa_reserve_vcc 1
		.amdhsa_float_round_mode_32 0
		.amdhsa_float_round_mode_16_64 0
		.amdhsa_float_denorm_mode_32 3
		.amdhsa_float_denorm_mode_16_64 3
		.amdhsa_dx10_clamp 1
		.amdhsa_ieee_mode 1
		.amdhsa_fp16_overflow 0
		.amdhsa_tg_split 0
		.amdhsa_exception_fp_ieee_invalid_op 0
		.amdhsa_exception_fp_denorm_src 0
		.amdhsa_exception_fp_ieee_div_zero 0
		.amdhsa_exception_fp_ieee_overflow 0
		.amdhsa_exception_fp_ieee_underflow 0
		.amdhsa_exception_fp_ieee_inexact 0
		.amdhsa_exception_int_div_zero 0
	.end_amdhsa_kernel
	.section	.text._ZN9rocsolver6v33100L23larf_right_kernel_smallILi1024E19rocblas_complex_numIfEiPKPS3_EEvT1_S7_T2_lS7_lPKT0_lS8_lS7_l,"axG",@progbits,_ZN9rocsolver6v33100L23larf_right_kernel_smallILi1024E19rocblas_complex_numIfEiPKPS3_EEvT1_S7_T2_lS7_lPKT0_lS8_lS7_l,comdat
.Lfunc_end19:
	.size	_ZN9rocsolver6v33100L23larf_right_kernel_smallILi1024E19rocblas_complex_numIfEiPKPS3_EEvT1_S7_T2_lS7_lPKT0_lS8_lS7_l, .Lfunc_end19-_ZN9rocsolver6v33100L23larf_right_kernel_smallILi1024E19rocblas_complex_numIfEiPKPS3_EEvT1_S7_T2_lS7_lPKT0_lS8_lS7_l
                                        ; -- End function
	.set _ZN9rocsolver6v33100L23larf_right_kernel_smallILi1024E19rocblas_complex_numIfEiPKPS3_EEvT1_S7_T2_lS7_lPKT0_lS8_lS7_l.num_vgpr, 36
	.set _ZN9rocsolver6v33100L23larf_right_kernel_smallILi1024E19rocblas_complex_numIfEiPKPS3_EEvT1_S7_T2_lS7_lPKT0_lS8_lS7_l.num_agpr, 0
	.set _ZN9rocsolver6v33100L23larf_right_kernel_smallILi1024E19rocblas_complex_numIfEiPKPS3_EEvT1_S7_T2_lS7_lPKT0_lS8_lS7_l.numbered_sgpr, 28
	.set _ZN9rocsolver6v33100L23larf_right_kernel_smallILi1024E19rocblas_complex_numIfEiPKPS3_EEvT1_S7_T2_lS7_lPKT0_lS8_lS7_l.num_named_barrier, 0
	.set _ZN9rocsolver6v33100L23larf_right_kernel_smallILi1024E19rocblas_complex_numIfEiPKPS3_EEvT1_S7_T2_lS7_lPKT0_lS8_lS7_l.private_seg_size, 0
	.set _ZN9rocsolver6v33100L23larf_right_kernel_smallILi1024E19rocblas_complex_numIfEiPKPS3_EEvT1_S7_T2_lS7_lPKT0_lS8_lS7_l.uses_vcc, 1
	.set _ZN9rocsolver6v33100L23larf_right_kernel_smallILi1024E19rocblas_complex_numIfEiPKPS3_EEvT1_S7_T2_lS7_lPKT0_lS8_lS7_l.uses_flat_scratch, 0
	.set _ZN9rocsolver6v33100L23larf_right_kernel_smallILi1024E19rocblas_complex_numIfEiPKPS3_EEvT1_S7_T2_lS7_lPKT0_lS8_lS7_l.has_dyn_sized_stack, 0
	.set _ZN9rocsolver6v33100L23larf_right_kernel_smallILi1024E19rocblas_complex_numIfEiPKPS3_EEvT1_S7_T2_lS7_lPKT0_lS8_lS7_l.has_recursion, 0
	.set _ZN9rocsolver6v33100L23larf_right_kernel_smallILi1024E19rocblas_complex_numIfEiPKPS3_EEvT1_S7_T2_lS7_lPKT0_lS8_lS7_l.has_indirect_call, 0
	.section	.AMDGPU.csdata,"",@progbits
; Kernel info:
; codeLenInByte = 1484
; TotalNumSgprs: 34
; NumVgprs: 36
; NumAgprs: 0
; TotalNumVgprs: 36
; ScratchSize: 0
; MemoryBound: 0
; FloatMode: 240
; IeeeMode: 1
; LDSByteSize: 16512 bytes/workgroup (compile time only)
; SGPRBlocks: 4
; VGPRBlocks: 4
; NumSGPRsForWavesPerEU: 34
; NumVGPRsForWavesPerEU: 36
; AccumOffset: 36
; Occupancy: 8
; WaveLimiterHint : 1
; COMPUTE_PGM_RSRC2:SCRATCH_EN: 0
; COMPUTE_PGM_RSRC2:USER_SGPR: 2
; COMPUTE_PGM_RSRC2:TRAP_HANDLER: 0
; COMPUTE_PGM_RSRC2:TGID_X_EN: 1
; COMPUTE_PGM_RSRC2:TGID_Y_EN: 1
; COMPUTE_PGM_RSRC2:TGID_Z_EN: 0
; COMPUTE_PGM_RSRC2:TIDIG_COMP_CNT: 0
; COMPUTE_PGM_RSRC3_GFX90A:ACCUM_OFFSET: 8
; COMPUTE_PGM_RSRC3_GFX90A:TG_SPLIT: 0
	.section	.text._ZN9rocsolver6v33100L22larf_left_kernel_smallILi64E19rocblas_complex_numIfElPS3_EEvT1_S5_T2_lS5_lPKT0_lS6_lS5_l,"axG",@progbits,_ZN9rocsolver6v33100L22larf_left_kernel_smallILi64E19rocblas_complex_numIfElPS3_EEvT1_S5_T2_lS5_lPKT0_lS6_lS5_l,comdat
	.globl	_ZN9rocsolver6v33100L22larf_left_kernel_smallILi64E19rocblas_complex_numIfElPS3_EEvT1_S5_T2_lS5_lPKT0_lS6_lS5_l ; -- Begin function _ZN9rocsolver6v33100L22larf_left_kernel_smallILi64E19rocblas_complex_numIfElPS3_EEvT1_S5_T2_lS5_lPKT0_lS6_lS5_l
	.p2align	8
	.type	_ZN9rocsolver6v33100L22larf_left_kernel_smallILi64E19rocblas_complex_numIfElPS3_EEvT1_S5_T2_lS5_lPKT0_lS6_lS5_l,@function
_ZN9rocsolver6v33100L22larf_left_kernel_smallILi64E19rocblas_complex_numIfElPS3_EEvT1_S5_T2_lS5_lPKT0_lS6_lS5_l: ; @_ZN9rocsolver6v33100L22larf_left_kernel_smallILi64E19rocblas_complex_numIfElPS3_EEvT1_S5_T2_lS5_lPKT0_lS6_lS5_l
; %bb.0:
	s_load_dwordx16 s[12:27], s[0:1], 0x0
	s_mov_b32 s10, s3
	s_mov_b64 s[6:7], 0
	s_waitcnt lgkmcnt(0)
	v_cmp_gt_i64_e64 s[4:5], s[20:21], 0
	s_and_b64 vcc, exec, s[4:5]
	s_cbranch_vccnz .LBB20_2
; %bb.1:
	s_sub_u32 s3, 1, s12
	s_subb_u32 s4, 0, s13
	s_mul_i32 s4, s20, s4
	s_mul_hi_u32 s5, s20, s3
	s_add_i32 s4, s5, s4
	s_mul_i32 s5, s21, s3
	s_add_i32 s7, s4, s5
	s_mul_i32 s6, s20, s3
.LBB20_2:
	v_mov_b32_e32 v1, 0
	v_cmp_gt_i64_e64 s[8:9], s[12:13], v[0:1]
	v_lshlrev_b32_e32 v38, 3, v0
	s_and_saveexec_b64 s[4:5], s[8:9]
	s_cbranch_execz .LBB20_5
; %bb.3:
	s_mul_i32 s3, s23, s2
	s_mul_hi_u32 s11, s22, s2
	s_add_i32 s23, s11, s3
	s_mul_i32 s22, s22, s2
	s_lshl_b64 s[22:23], s[22:23], 3
	s_lshl_b64 s[6:7], s[6:7], 3
	;; [unrolled: 1-line block ×3, first 2 shown]
	s_add_u32 s3, s16, s18
	s_addc_u32 s11, s17, s19
	v_mad_u64_u32 v[2:3], s[28:29], s20, v0, 0
	s_add_u32 s3, s3, s6
	v_mov_b32_e32 v4, v3
	s_addc_u32 s7, s11, s7
	v_mad_u64_u32 v[4:5], s[28:29], s21, v0, v[4:5]
	s_add_u32 s6, s3, s22
	v_mov_b32_e32 v3, v4
	s_addc_u32 s7, s7, s23
	v_lshl_add_u64 v[2:3], v[2:3], 3, s[6:7]
	s_lshl_b64 s[6:7], s[20:21], 9
	v_lshlrev_b32_e32 v6, 3, v0
	s_mov_b64 s[16:17], 0
	v_mov_b64_e32 v[4:5], v[0:1]
.LBB20_4:                               ; =>This Inner Loop Header: Depth=1
	global_load_dwordx2 v[8:9], v[2:3], off
	v_lshl_add_u64 v[4:5], v[4:5], 0, 64
	v_cmp_le_i64_e32 vcc, s[12:13], v[4:5]
	v_lshl_add_u64 v[2:3], v[2:3], 0, s[6:7]
	s_or_b64 s[16:17], vcc, s[16:17]
	s_waitcnt vmcnt(0)
	ds_write_b64 v6, v[8:9]
	v_add_u32_e32 v6, 0x200, v6
	s_andn2_b64 exec, exec, s[16:17]
	s_cbranch_execnz .LBB20_4
.LBB20_5:
	s_or_b64 exec, exec, s[4:5]
	s_mov_b32 s11, 0
	v_mov_b64_e32 v[2:3], s[10:11]
	v_cmp_le_i64_e32 vcc, s[14:15], v[2:3]
	s_waitcnt lgkmcnt(0)
	; wave barrier
	s_cbranch_vccnz .LBB20_32
; %bb.6:
	s_load_dwordx8 s[16:23], s[0:1], 0x40
	s_mul_i32 s0, s27, s2
	s_mul_hi_u32 s1, s26, s2
	s_add_i32 s1, s1, s0
	s_mul_i32 s0, s26, s2
	s_waitcnt lgkmcnt(0)
	s_mul_i32 s3, s23, s2
	s_mul_hi_u32 s4, s22, s2
	s_add_i32 s29, s4, s3
	s_lshl_b64 s[0:1], s[0:1], 3
	s_add_u32 s0, s24, s0
	s_addc_u32 s1, s25, s1
	s_cmp_gt_i32 s12, 1
	s_mul_i32 s4, s21, s10
	s_mul_hi_u32 s5, s20, s10
	s_mul_i32 s28, s22, s2
	s_cselect_b64 s[22:23], -1, 0
	s_add_i32 s31, s5, s4
	s_mul_i32 s30, s20, s10
	s_add_u32 s4, s28, s30
	s_addc_u32 s5, s29, s31
	s_add_u32 s4, s4, s18
	s_addc_u32 s5, s5, s19
	s_lshl_b64 s[20:21], s[20:21], 9
	s_lshl_b64 s[28:29], s[28:29], 3
	;; [unrolled: 1-line block ×3, first 2 shown]
	v_mov_b32_e32 v3, -1
	v_not_b32_e32 v2, v0
	s_add_u32 s28, s28, s30
	v_lshl_add_u64 v[2:3], s[12:13], 0, v[2:3]
	s_addc_u32 s29, s29, s31
	s_lshl_b64 s[18:19], s[18:19], 3
	v_lshrrev_b64 v[6:7], 6, v[2:3]
	s_add_u32 s18, s28, s18
	v_lshl_add_u64 v[4:5], s[4:5], 0, v[0:1]
	v_lshl_add_u64 v[6:7], v[6:7], 0, 1
	s_mov_b32 s6, -1
	s_addc_u32 s19, s29, s19
	v_lshl_add_u64 v[10:11], v[4:5], 3, s[16:17]
	s_brev_b32 s7, -8
	v_and_b32_e32 v14, -2, v6
	v_mov_b32_e32 v15, v7
	v_mov_b32_e32 v18, 0
	s_add_u32 s16, s16, s18
	s_mov_b64 s[4:5], 0xc0
	v_cmp_lt_u64_e32 vcc, s[6:7], v[2:3]
	v_lshlrev_b64 v[16:17], 6, v[14:15]
	v_cmp_ne_u64_e64 s[6:7], v[6:7], v[14:15]
	v_lshlrev_b32_e32 v20, 3, v0
	v_mov_b32_e32 v21, v18
	s_addc_u32 s17, s17, s19
	v_mbcnt_lo_u32_b32 v6, -1, 0
	v_lshrrev_b32_e32 v8, 3, v0
	v_cmp_gt_u64_e64 s[26:27], s[4:5], v[2:3]
	s_mov_b64 s[4:5], 0xbf
	v_lshlrev_b64 v[12:13], 3, v[2:3]
	v_or_b32_e32 v16, v16, v0
	v_lshl_add_u64 v[22:23], s[16:17], 0, v[20:21]
	s_mov_b64 s[18:19], 0x204
	v_mbcnt_hi_u32_b32 v39, -1, v6
	v_mov_b32_e32 v6, 0x80
	v_cmp_gt_i32_e64 s[2:3], s12, v0
	v_cmp_eq_u32_e64 s[24:25], 0, v0
	v_cmp_lt_u64_e64 s[4:5], s[4:5], v[2:3]
	v_and_b32_e32 v12, 0xfffffe00, v12
	v_or_b32_e32 v4, 64, v0
	v_mov_b32_e32 v2, v0
	v_mov_b32_e32 v3, v18
	;; [unrolled: 1-line block ×3, first 2 shown]
	v_lshl_add_u64 v[24:25], v[22:23], 0, s[18:19]
	s_mov_b64 s[18:19], 0
	s_mov_b64 s[28:29], 0x200
	v_and_b32_e32 v40, 63, v39
	v_or_b32_e32 v41, 0x4000, v8
	s_mov_b64 s[30:31], 0x80
	s_mov_b64 s[34:35], 0x400
	v_lshlrev_b64 v[26:27], 3, v[16:17]
	v_mov_b64_e32 v[28:29], s[14:15]
	v_lshl_or_b32 v42, v39, 2, v6
	s_xor_b64 s[14:15], vcc, -1
	s_branch .LBB20_8
.LBB20_7:                               ;   in Loop: Header=BB20_8 Depth=1
	s_or_b64 exec, exec, s[36:37]
	s_add_u32 s10, s10, 64
	s_addc_u32 s11, s11, 0
	s_add_u32 s18, s18, 1
	s_addc_u32 s19, s19, 0
	s_add_u32 s16, s16, s20
	v_cmp_ge_i64_e32 vcc, s[10:11], v[28:29]
	v_lshl_add_u64 v[22:23], v[22:23], 0, s[20:21]
	v_lshl_add_u64 v[24:25], v[24:25], 0, s[20:21]
	s_addc_u32 s17, s17, s21
	s_cbranch_vccnz .LBB20_32
.LBB20_8:                               ; =>This Loop Header: Depth=1
                                        ;     Child Loop BB20_10 Depth 2
                                        ;     Child Loop BB20_24 Depth 2
	;; [unrolled: 1-line block ×3, first 2 shown]
	v_mov_b32_e32 v19, v18
	v_mov_b64_e32 v[6:7], v[18:19]
	s_and_saveexec_b64 s[36:37], s[2:3]
	s_cbranch_execz .LBB20_12
; %bb.9:                                ;   in Loop: Header=BB20_8 Depth=1
	v_mov_b32_e32 v6, 0
	s_mov_b64 s[38:39], 0
	v_mov_b64_e32 v[8:9], v[22:23]
	v_mov_b32_e32 v19, v38
	v_mov_b32_e32 v30, v0
	v_mov_b32_e32 v7, v6
.LBB20_10:                              ;   Parent Loop BB20_8 Depth=1
                                        ; =>  This Inner Loop Header: Depth=2
	global_load_dwordx2 v[32:33], v[8:9], off
	ds_read_b64 v[34:35], v19
	v_add_u32_e32 v30, 64, v30
	v_cmp_le_i32_e32 vcc, s12, v30
	v_add_u32_e32 v19, 0x200, v19
	v_lshl_add_u64 v[8:9], v[8:9], 0, s[28:29]
	s_waitcnt lgkmcnt(0)
	v_mov_b32_e32 v36, v35
	s_or_b64 s[38:39], vcc, s[38:39]
	s_waitcnt vmcnt(0)
	v_pk_mul_f32 v[44:45], v[32:33], v[34:35] op_sel_hi:[1,0]
	s_nop 0
	v_pk_fma_f32 v[36:37], v[32:33], v[36:37], v[44:45] op_sel:[1,0,0] op_sel_hi:[0,1,1]
	v_pk_fma_f32 v[32:33], v[32:33], v[34:35], v[44:45] op_sel:[1,1,0] op_sel_hi:[0,1,1] neg_lo:[0,0,1] neg_hi:[0,0,1]
	v_mov_b32_e32 v37, v33
	v_pk_add_f32 v[6:7], v[6:7], v[36:37]
	s_andn2_b64 exec, exec, s[38:39]
	s_cbranch_execnz .LBB20_10
; %bb.11:                               ;   in Loop: Header=BB20_8 Depth=1
	s_or_b64 exec, exec, s[38:39]
.LBB20_12:                              ;   in Loop: Header=BB20_8 Depth=1
	s_or_b64 exec, exec, s[36:37]
	s_and_b64 vcc, exec, s[22:23]
	s_cbranch_vccz .LBB20_17
; %bb.13:                               ;   in Loop: Header=BB20_8 Depth=1
	v_cmp_ne_u32_e32 vcc, 63, v40
	s_nop 1
	v_addc_co_u32_e32 v8, vcc, 0, v39, vcc
	v_lshlrev_b32_e32 v9, 2, v8
	ds_bpermute_b32 v8, v9, v6
	ds_bpermute_b32 v9, v9, v7
	v_cmp_gt_u32_e32 vcc, 62, v40
	s_waitcnt lgkmcnt(0)
	v_pk_add_f32 v[8:9], v[6:7], v[8:9]
	v_cndmask_b32_e64 v19, 0, 2, vcc
	v_add_lshl_u32 v19, v19, v39, 2
	ds_bpermute_b32 v30, v19, v8
	ds_bpermute_b32 v31, v19, v9
	v_cmp_gt_u32_e32 vcc, 60, v40
	s_waitcnt lgkmcnt(0)
	v_pk_add_f32 v[8:9], v[8:9], v[30:31]
	v_cndmask_b32_e64 v19, 0, 4, vcc
	v_add_lshl_u32 v19, v19, v39, 2
	;; [unrolled: 7-line block ×4, first 2 shown]
	ds_bpermute_b32 v30, v19, v8
	ds_bpermute_b32 v31, v19, v9
	s_waitcnt lgkmcnt(0)
	v_pk_add_f32 v[8:9], v[8:9], v[30:31]
	ds_bpermute_b32 v30, v42, v8
	ds_bpermute_b32 v31, v42, v9
	s_waitcnt lgkmcnt(0)
	v_pk_add_f32 v[8:9], v[8:9], v[30:31]
	s_and_saveexec_b64 s[36:37], s[24:25]
; %bb.14:                               ;   in Loop: Header=BB20_8 Depth=1
	ds_write2_b32 v41, v8, v9 offset1:1
; %bb.15:                               ;   in Loop: Header=BB20_8 Depth=1
	s_or_b64 exec, exec, s[36:37]
	s_waitcnt lgkmcnt(0)
	; wave barrier
	s_mov_b64 s[36:37], s[24:25]
.LBB20_16:                              ;   in Loop: Header=BB20_8 Depth=1
	v_mov_b64_e32 v[6:7], v[8:9]
	s_and_saveexec_b64 s[38:39], s[36:37]
	s_cbranch_execnz .LBB20_19
	s_branch .LBB20_20
.LBB20_17:                              ;   in Loop: Header=BB20_8 Depth=1
	s_mov_b64 s[36:37], 0
                                        ; implicit-def: $vgpr8_vgpr9
	s_cbranch_execz .LBB20_16
; %bb.18:                               ;   in Loop: Header=BB20_8 Depth=1
	s_andn2_b64 s[36:37], s[36:37], exec
	s_and_b64 s[38:39], s[24:25], exec
	s_or_b64 s[36:37], s[36:37], s[38:39]
	s_and_saveexec_b64 s[38:39], s[36:37]
.LBB20_19:                              ;   in Loop: Header=BB20_8 Depth=1
	ds_write_b64 v18, v[6:7] offset:16384
.LBB20_20:                              ;   in Loop: Header=BB20_8 Depth=1
	s_or_b64 exec, exec, s[38:39]
	s_waitcnt lgkmcnt(0)
	; wave barrier
	s_and_saveexec_b64 s[36:37], s[8:9]
	s_cbranch_execz .LBB20_7
; %bb.21:                               ;   in Loop: Header=BB20_8 Depth=1
	global_load_dwordx2 v[8:9], v18, s[0:1]
	ds_read_b64 v[30:31], v18 offset:16384
	s_mov_b64 s[40:41], s[26:27]
	v_mov_b64_e32 v[6:7], v[0:1]
	s_waitcnt vmcnt(0) lgkmcnt(0)
	v_mul_f32_e32 v19, v9, v31
	v_mul_f32_e32 v9, v9, v30
	v_fma_f32 v30, v30, -v8, -v19
	v_fma_f32 v32, v8, v31, -v9
	v_mov_b64_e32 v[8:9], v[20:21]
	s_and_saveexec_b64 s[38:39], s[4:5]
	s_cbranch_execz .LBB20_29
; %bb.22:                               ;   in Loop: Header=BB20_8 Depth=1
	s_mul_i32 s33, s21, s18
	s_mul_i32 s40, s20, s19
	v_mov_b32_e32 v6, s18
	s_add_i32 s33, s40, s33
	v_mad_u64_u32 v[6:7], s[40:41], s20, v6, v[10:11]
	v_add_u32_e32 v7, s33, v7
	v_lshl_add_u64 v[8:9], v[6:7], 0, v[12:13]
	v_cmp_ge_u64_e32 vcc, v[8:9], v[6:7]
	s_mov_b64 s[42:43], -1
	s_and_b64 s[44:45], vcc, s[14:15]
	v_mov_b64_e32 v[6:7], v[0:1]
	v_mov_b64_e32 v[8:9], v[20:21]
	s_and_saveexec_b64 s[40:41], s[44:45]
	s_cbranch_execz .LBB20_28
; %bb.23:                               ;   in Loop: Header=BB20_8 Depth=1
	v_mov_b64_e32 v[8:9], v[4:5]
	v_mov_b32_e32 v31, v30
	v_mov_b32_e32 v33, v32
	s_mov_b64 s[42:43], 0
	v_mov_b64_e32 v[34:35], v[14:15]
	v_mov_b64_e32 v[36:37], v[24:25]
	;; [unrolled: 1-line block ×3, first 2 shown]
.LBB20_24:                              ;   Parent Loop BB20_8 Depth=1
                                        ; =>  This Inner Loop Header: Depth=2
	global_load_dwordx2 v[52:53], v[36:37], off offset:-516
	global_load_dwordx2 v[44:45], v[36:37], off offset:-4
	v_lshlrev_b32_e32 v19, 3, v6
	v_lshlrev_b32_e32 v43, 3, v8
	ds_read_b64 v[50:51], v19
	ds_read_b64 v[46:47], v43
	v_lshl_add_u64 v[34:35], v[34:35], 0, -2
	v_cmp_eq_u64_e32 vcc, 0, v[34:35]
	v_lshl_add_u64 v[8:9], v[8:9], 0, s[30:31]
	s_waitcnt lgkmcnt(1)
	v_mov_b32_e32 v48, v50
	s_waitcnt lgkmcnt(0)
	v_mov_b32_e32 v49, v46
	v_mov_b32_e32 v46, v51
	v_pk_mul_f32 v[50:51], v[32:33], v[46:47]
	v_pk_mul_f32 v[46:47], v[30:31], v[46:47]
	v_pk_fma_f32 v[50:51], v[30:31], v[48:49], v[50:51] neg_lo:[0,0,1] neg_hi:[0,0,1]
	v_pk_fma_f32 v[46:47], v[32:33], v[48:49], v[46:47]
	v_lshl_add_u64 v[6:7], v[6:7], 0, s[30:31]
	s_or_b64 s[42:43], vcc, s[42:43]
	s_waitcnt vmcnt(1)
	v_mov_b32_e32 v48, v52
	s_waitcnt vmcnt(0)
	v_mov_b32_e32 v49, v44
	v_mov_b32_e32 v44, v53
	v_pk_add_f32 v[48:49], v[48:49], v[50:51]
	v_pk_add_f32 v[44:45], v[46:47], v[44:45]
	v_mov_b32_e32 v46, v48
	v_mov_b32_e32 v47, v44
	;; [unrolled: 1-line block ×3, first 2 shown]
	global_store_dwordx2 v[36:37], v[46:47], off offset:-516
	global_store_dwordx2 v[36:37], v[44:45], off offset:-4
	v_lshl_add_u64 v[36:37], v[36:37], 0, s[34:35]
	s_andn2_b64 exec, exec, s[42:43]
	s_cbranch_execnz .LBB20_24
; %bb.25:                               ;   in Loop: Header=BB20_8 Depth=1
	s_or_b64 exec, exec, s[42:43]
	s_mov_b64 s[42:43], 0
	s_and_saveexec_b64 s[44:45], s[6:7]
; %bb.26:                               ;   in Loop: Header=BB20_8 Depth=1
	s_mov_b64 s[42:43], exec
; %bb.27:                               ;   in Loop: Header=BB20_8 Depth=1
	s_or_b64 exec, exec, s[44:45]
	s_orn2_b64 s[42:43], s[42:43], exec
	v_mov_b64_e32 v[6:7], v[16:17]
	v_mov_b64_e32 v[8:9], v[26:27]
.LBB20_28:                              ;   in Loop: Header=BB20_8 Depth=1
	s_or_b64 exec, exec, s[40:41]
	s_andn2_b64 s[40:41], s[26:27], exec
	s_and_b64 s[42:43], s[42:43], exec
	s_or_b64 s[40:41], s[40:41], s[42:43]
.LBB20_29:                              ;   in Loop: Header=BB20_8 Depth=1
	s_or_b64 exec, exec, s[38:39]
	s_and_b64 exec, exec, s[40:41]
	s_cbranch_execz .LBB20_7
; %bb.30:                               ;   in Loop: Header=BB20_8 Depth=1
	v_mov_b32_e32 v33, v32
	v_mov_b32_e32 v31, v30
	v_lshlrev_b32_e32 v19, 3, v6
	v_lshl_add_u64 v[8:9], s[16:17], 0, v[8:9]
	s_mov_b64 s[38:39], 0
.LBB20_31:                              ;   Parent Loop BB20_8 Depth=1
                                        ; =>  This Inner Loop Header: Depth=2
	global_load_dwordx2 v[34:35], v[8:9], off
	ds_read_b64 v[36:37], v19
	v_lshl_add_u64 v[6:7], v[6:7], 0, 64
	v_cmp_le_i64_e32 vcc, s[12:13], v[6:7]
	v_add_u32_e32 v19, 0x200, v19
	s_or_b64 s[38:39], vcc, s[38:39]
	s_waitcnt lgkmcnt(0)
	v_pk_mul_f32 v[44:45], v[32:33], v[36:37] op_sel:[0,1] op_sel_hi:[1,0]
	s_nop 0
	v_pk_fma_f32 v[46:47], v[30:31], v[36:37], v[44:45] neg_lo:[0,0,1] neg_hi:[0,0,1]
	v_pk_fma_f32 v[36:37], v[30:31], v[36:37], v[44:45]
	s_nop 0
	v_mov_b32_e32 v47, v37
	s_waitcnt vmcnt(0)
	v_pk_add_f32 v[34:35], v[34:35], v[46:47]
	global_store_dwordx2 v[8:9], v[34:35], off
	v_lshl_add_u64 v[8:9], v[8:9], 0, s[28:29]
	s_andn2_b64 exec, exec, s[38:39]
	s_cbranch_execnz .LBB20_31
	s_branch .LBB20_7
.LBB20_32:
	s_endpgm
	.section	.rodata,"a",@progbits
	.p2align	6, 0x0
	.amdhsa_kernel _ZN9rocsolver6v33100L22larf_left_kernel_smallILi64E19rocblas_complex_numIfElPS3_EEvT1_S5_T2_lS5_lPKT0_lS6_lS5_l
		.amdhsa_group_segment_fixed_size 16896
		.amdhsa_private_segment_fixed_size 0
		.amdhsa_kernarg_size 96
		.amdhsa_user_sgpr_count 2
		.amdhsa_user_sgpr_dispatch_ptr 0
		.amdhsa_user_sgpr_queue_ptr 0
		.amdhsa_user_sgpr_kernarg_segment_ptr 1
		.amdhsa_user_sgpr_dispatch_id 0
		.amdhsa_user_sgpr_kernarg_preload_length 0
		.amdhsa_user_sgpr_kernarg_preload_offset 0
		.amdhsa_user_sgpr_private_segment_size 0
		.amdhsa_uses_dynamic_stack 0
		.amdhsa_enable_private_segment 0
		.amdhsa_system_sgpr_workgroup_id_x 1
		.amdhsa_system_sgpr_workgroup_id_y 1
		.amdhsa_system_sgpr_workgroup_id_z 0
		.amdhsa_system_sgpr_workgroup_info 0
		.amdhsa_system_vgpr_workitem_id 0
		.amdhsa_next_free_vgpr 129
		.amdhsa_next_free_sgpr 96
		.amdhsa_accum_offset 56
		.amdhsa_reserve_vcc 1
		.amdhsa_float_round_mode_32 0
		.amdhsa_float_round_mode_16_64 0
		.amdhsa_float_denorm_mode_32 3
		.amdhsa_float_denorm_mode_16_64 3
		.amdhsa_dx10_clamp 1
		.amdhsa_ieee_mode 1
		.amdhsa_fp16_overflow 0
		.amdhsa_tg_split 0
		.amdhsa_exception_fp_ieee_invalid_op 0
		.amdhsa_exception_fp_denorm_src 0
		.amdhsa_exception_fp_ieee_div_zero 0
		.amdhsa_exception_fp_ieee_overflow 0
		.amdhsa_exception_fp_ieee_underflow 0
		.amdhsa_exception_fp_ieee_inexact 0
		.amdhsa_exception_int_div_zero 0
	.end_amdhsa_kernel
	.section	.text._ZN9rocsolver6v33100L22larf_left_kernel_smallILi64E19rocblas_complex_numIfElPS3_EEvT1_S5_T2_lS5_lPKT0_lS6_lS5_l,"axG",@progbits,_ZN9rocsolver6v33100L22larf_left_kernel_smallILi64E19rocblas_complex_numIfElPS3_EEvT1_S5_T2_lS5_lPKT0_lS6_lS5_l,comdat
.Lfunc_end20:
	.size	_ZN9rocsolver6v33100L22larf_left_kernel_smallILi64E19rocblas_complex_numIfElPS3_EEvT1_S5_T2_lS5_lPKT0_lS6_lS5_l, .Lfunc_end20-_ZN9rocsolver6v33100L22larf_left_kernel_smallILi64E19rocblas_complex_numIfElPS3_EEvT1_S5_T2_lS5_lPKT0_lS6_lS5_l
                                        ; -- End function
	.set _ZN9rocsolver6v33100L22larf_left_kernel_smallILi64E19rocblas_complex_numIfElPS3_EEvT1_S5_T2_lS5_lPKT0_lS6_lS5_l.num_vgpr, 54
	.set _ZN9rocsolver6v33100L22larf_left_kernel_smallILi64E19rocblas_complex_numIfElPS3_EEvT1_S5_T2_lS5_lPKT0_lS6_lS5_l.num_agpr, 0
	.set _ZN9rocsolver6v33100L22larf_left_kernel_smallILi64E19rocblas_complex_numIfElPS3_EEvT1_S5_T2_lS5_lPKT0_lS6_lS5_l.numbered_sgpr, 46
	.set _ZN9rocsolver6v33100L22larf_left_kernel_smallILi64E19rocblas_complex_numIfElPS3_EEvT1_S5_T2_lS5_lPKT0_lS6_lS5_l.num_named_barrier, 0
	.set _ZN9rocsolver6v33100L22larf_left_kernel_smallILi64E19rocblas_complex_numIfElPS3_EEvT1_S5_T2_lS5_lPKT0_lS6_lS5_l.private_seg_size, 0
	.set _ZN9rocsolver6v33100L22larf_left_kernel_smallILi64E19rocblas_complex_numIfElPS3_EEvT1_S5_T2_lS5_lPKT0_lS6_lS5_l.uses_vcc, 1
	.set _ZN9rocsolver6v33100L22larf_left_kernel_smallILi64E19rocblas_complex_numIfElPS3_EEvT1_S5_T2_lS5_lPKT0_lS6_lS5_l.uses_flat_scratch, 0
	.set _ZN9rocsolver6v33100L22larf_left_kernel_smallILi64E19rocblas_complex_numIfElPS3_EEvT1_S5_T2_lS5_lPKT0_lS6_lS5_l.has_dyn_sized_stack, 0
	.set _ZN9rocsolver6v33100L22larf_left_kernel_smallILi64E19rocblas_complex_numIfElPS3_EEvT1_S5_T2_lS5_lPKT0_lS6_lS5_l.has_recursion, 0
	.set _ZN9rocsolver6v33100L22larf_left_kernel_smallILi64E19rocblas_complex_numIfElPS3_EEvT1_S5_T2_lS5_lPKT0_lS6_lS5_l.has_indirect_call, 0
	.section	.AMDGPU.csdata,"",@progbits
; Kernel info:
; codeLenInByte = 1844
; TotalNumSgprs: 52
; NumVgprs: 54
; NumAgprs: 0
; TotalNumVgprs: 54
; ScratchSize: 0
; MemoryBound: 0
; FloatMode: 240
; IeeeMode: 1
; LDSByteSize: 16896 bytes/workgroup (compile time only)
; SGPRBlocks: 12
; VGPRBlocks: 16
; NumSGPRsForWavesPerEU: 102
; NumVGPRsForWavesPerEU: 129
; AccumOffset: 56
; Occupancy: 3
; WaveLimiterHint : 1
; COMPUTE_PGM_RSRC2:SCRATCH_EN: 0
; COMPUTE_PGM_RSRC2:USER_SGPR: 2
; COMPUTE_PGM_RSRC2:TRAP_HANDLER: 0
; COMPUTE_PGM_RSRC2:TGID_X_EN: 1
; COMPUTE_PGM_RSRC2:TGID_Y_EN: 1
; COMPUTE_PGM_RSRC2:TGID_Z_EN: 0
; COMPUTE_PGM_RSRC2:TIDIG_COMP_CNT: 0
; COMPUTE_PGM_RSRC3_GFX90A:ACCUM_OFFSET: 13
; COMPUTE_PGM_RSRC3_GFX90A:TG_SPLIT: 0
	.section	.text._ZN9rocsolver6v33100L22larf_left_kernel_smallILi128E19rocblas_complex_numIfElPS3_EEvT1_S5_T2_lS5_lPKT0_lS6_lS5_l,"axG",@progbits,_ZN9rocsolver6v33100L22larf_left_kernel_smallILi128E19rocblas_complex_numIfElPS3_EEvT1_S5_T2_lS5_lPKT0_lS6_lS5_l,comdat
	.globl	_ZN9rocsolver6v33100L22larf_left_kernel_smallILi128E19rocblas_complex_numIfElPS3_EEvT1_S5_T2_lS5_lPKT0_lS6_lS5_l ; -- Begin function _ZN9rocsolver6v33100L22larf_left_kernel_smallILi128E19rocblas_complex_numIfElPS3_EEvT1_S5_T2_lS5_lPKT0_lS6_lS5_l
	.p2align	8
	.type	_ZN9rocsolver6v33100L22larf_left_kernel_smallILi128E19rocblas_complex_numIfElPS3_EEvT1_S5_T2_lS5_lPKT0_lS6_lS5_l,@function
_ZN9rocsolver6v33100L22larf_left_kernel_smallILi128E19rocblas_complex_numIfElPS3_EEvT1_S5_T2_lS5_lPKT0_lS6_lS5_l: ; @_ZN9rocsolver6v33100L22larf_left_kernel_smallILi128E19rocblas_complex_numIfElPS3_EEvT1_S5_T2_lS5_lPKT0_lS6_lS5_l
; %bb.0:
	s_load_dwordx16 s[16:31], s[0:1], 0x0
	s_mov_b32 s14, s3
	s_mov_b64 s[6:7], 0
	s_waitcnt lgkmcnt(0)
	v_cmp_gt_i64_e64 s[4:5], s[24:25], 0
	s_and_b64 vcc, exec, s[4:5]
	s_cbranch_vccnz .LBB21_2
; %bb.1:
	s_sub_u32 s3, 1, s16
	s_subb_u32 s4, 0, s17
	s_mul_i32 s4, s24, s4
	s_mul_hi_u32 s5, s24, s3
	s_add_i32 s4, s5, s4
	s_mul_i32 s5, s25, s3
	s_add_i32 s7, s4, s5
	s_mul_i32 s6, s24, s3
.LBB21_2:
	v_mov_b32_e32 v1, 0
	v_cmp_gt_i64_e64 s[12:13], s[16:17], v[0:1]
	v_lshlrev_b32_e32 v38, 3, v0
	s_and_saveexec_b64 s[4:5], s[12:13]
	s_cbranch_execz .LBB21_5
; %bb.3:
	v_mad_u64_u32 v[2:3], s[10:11], s24, v0, 0
	s_mul_i32 s3, s27, s2
	s_mul_hi_u32 s8, s26, s2
	v_mov_b32_e32 v4, v3
	s_add_i32 s9, s8, s3
	s_mul_i32 s8, s26, s2
	v_mad_u64_u32 v[4:5], s[10:11], s25, v0, v[4:5]
	s_lshl_b64 s[8:9], s[8:9], 3
	s_lshl_b64 s[6:7], s[6:7], 3
	;; [unrolled: 1-line block ×3, first 2 shown]
	s_add_u32 s3, s20, s10
	s_addc_u32 s10, s21, s11
	s_add_u32 s3, s3, s6
	s_addc_u32 s7, s10, s7
	s_add_u32 s6, s3, s8
	v_mov_b32_e32 v3, v4
	s_addc_u32 s7, s7, s9
	v_lshl_add_u64 v[2:3], v[2:3], 3, s[6:7]
	s_lshl_b64 s[6:7], s[24:25], 10
	v_lshlrev_b32_e32 v6, 3, v0
	s_mov_b64 s[8:9], 0
	s_mov_b64 s[10:11], 0x80
	v_mov_b64_e32 v[4:5], v[0:1]
.LBB21_4:                               ; =>This Inner Loop Header: Depth=1
	global_load_dwordx2 v[8:9], v[2:3], off
	v_lshl_add_u64 v[4:5], v[4:5], 0, s[10:11]
	v_cmp_le_i64_e32 vcc, s[16:17], v[4:5]
	v_lshl_add_u64 v[2:3], v[2:3], 0, s[6:7]
	s_or_b64 s[8:9], vcc, s[8:9]
	s_waitcnt vmcnt(0)
	ds_write_b64 v6, v[8:9]
	v_add_u32_e32 v6, 0x400, v6
	s_andn2_b64 exec, exec, s[8:9]
	s_cbranch_execnz .LBB21_4
.LBB21_5:
	s_or_b64 exec, exec, s[4:5]
	s_mov_b32 s15, 0
	v_mov_b64_e32 v[2:3], s[14:15]
	v_cmp_le_i64_e32 vcc, s[18:19], v[2:3]
	s_waitcnt lgkmcnt(0)
	s_barrier
	s_cbranch_vccnz .LBB21_34
; %bb.6:
	s_load_dwordx8 s[20:27], s[0:1], 0x40
	s_mul_i32 s0, s31, s2
	s_mul_hi_u32 s1, s30, s2
	s_add_i32 s1, s1, s0
	s_mul_i32 s0, s30, s2
	s_waitcnt lgkmcnt(0)
	s_mul_i32 s3, s27, s2
	s_mul_hi_u32 s4, s26, s2
	s_add_i32 s35, s4, s3
	s_lshl_b64 s[0:1], s[0:1], 3
	s_add_u32 s0, s28, s0
	s_addc_u32 s1, s29, s1
	s_cmp_gt_i32 s16, 1
	s_mul_i32 s8, s25, s14
	s_mul_hi_u32 s9, s24, s14
	s_mul_i32 s34, s26, s2
	s_cselect_b64 s[26:27], -1, 0
	s_add_i32 s31, s9, s8
	s_mul_i32 s30, s24, s14
	s_add_u32 s8, s34, s30
	s_addc_u32 s9, s35, s31
	s_add_u32 s8, s8, s22
	s_addc_u32 s9, s9, s23
	s_lshl_b64 s[24:25], s[24:25], 9
	s_lshl_b64 s[34:35], s[34:35], 3
	;; [unrolled: 1-line block ×3, first 2 shown]
	v_and_b32_e32 v2, 63, v0
	s_add_u32 s30, s34, s30
	v_cmp_eq_u32_e64 s[4:5], 0, v2
	v_mov_b32_e32 v3, -1
	v_not_b32_e32 v2, v0
	s_addc_u32 s31, s35, s31
	s_lshl_b64 s[22:23], s[22:23], 3
	v_lshl_add_u64 v[2:3], s[16:17], 0, v[2:3]
	s_add_u32 s22, s30, s22
	v_lshl_add_u64 v[4:5], s[8:9], 0, v[0:1]
	v_lshrrev_b64 v[6:7], 7, v[2:3]
	s_addc_u32 s23, s31, s23
	v_lshl_add_u64 v[6:7], v[6:7], 0, 1
	v_lshl_add_u64 v[10:11], v[4:5], 3, s[20:21]
	s_mov_b32 s10, -1
	v_mov_b32_e32 v18, 0
	s_add_u32 s20, s20, s22
	s_brev_b32 s11, -8
	v_and_b32_e32 v14, -2, v6
	v_mov_b32_e32 v15, v7
	v_lshlrev_b32_e32 v20, 3, v0
	v_mov_b32_e32 v21, v18
	s_addc_u32 s21, s21, s23
	v_cmp_lt_u64_e32 vcc, s[10:11], v[2:3]
	v_cmp_ne_u64_e64 s[10:11], v[6:7], v[14:15]
	v_lshl_add_u64 v[6:7], s[20:21], 0, v[20:21]
	s_mov_b64 s[22:23], 0x404
	s_mov_b64 s[8:9], 0x180
	v_lshlrev_b64 v[16:17], 7, v[14:15]
	v_lshl_add_u64 v[22:23], v[6:7], 0, 4
	v_lshl_add_u64 v[24:25], v[6:7], 0, s[22:23]
	v_mbcnt_lo_u32_b32 v6, -1, 0
	v_lshrrev_b32_e32 v8, 3, v0
	v_cmp_gt_u64_e64 s[28:29], s[8:9], v[2:3]
	s_mov_b64 s[8:9], 0x17f
	v_lshlrev_b64 v[12:13], 3, v[2:3]
	v_or_b32_e32 v16, v16, v0
	v_mbcnt_hi_u32_b32 v39, -1, v6
	v_mov_b32_e32 v6, 0x80
	v_cmp_gt_i32_e64 s[2:3], s16, v0
	v_cmp_eq_u32_e64 s[6:7], 0, v0
	v_cmp_lt_u64_e64 s[8:9], s[8:9], v[2:3]
	v_and_b32_e32 v12, 0xfffffc00, v12
	v_or_b32_e32 v4, 0x80, v0
	v_mov_b32_e32 v2, v0
	v_mov_b32_e32 v3, v18
	;; [unrolled: 1-line block ×3, first 2 shown]
	s_mov_b64 s[22:23], 0
	s_mov_b64 s[30:31], 0x400
	v_and_b32_e32 v40, 63, v39
	v_or_b32_e32 v41, 0x4000, v8
	s_mov_b64 s[34:35], 0x100
	s_mov_b64 s[36:37], 0x800
	v_lshlrev_b64 v[26:27], 3, v[16:17]
	s_mov_b64 s[38:39], 0x80
	v_mov_b64_e32 v[28:29], s[18:19]
	v_lshl_or_b32 v42, v39, 2, v6
	s_xor_b64 s[18:19], vcc, -1
	s_branch .LBB21_8
.LBB21_7:                               ;   in Loop: Header=BB21_8 Depth=1
	s_or_b64 exec, exec, s[40:41]
	s_add_u32 s14, s14, 64
	s_addc_u32 s15, s15, 0
	s_add_u32 s22, s22, 1
	s_addc_u32 s23, s23, 0
	s_add_u32 s20, s20, s24
	v_cmp_ge_i64_e32 vcc, s[14:15], v[28:29]
	v_lshl_add_u64 v[22:23], v[22:23], 0, s[24:25]
	v_lshl_add_u64 v[24:25], v[24:25], 0, s[24:25]
	s_addc_u32 s21, s21, s25
	s_cbranch_vccnz .LBB21_34
.LBB21_8:                               ; =>This Loop Header: Depth=1
                                        ;     Child Loop BB21_10 Depth 2
                                        ;     Child Loop BB21_26 Depth 2
	;; [unrolled: 1-line block ×3, first 2 shown]
	v_mov_b32_e32 v19, v18
	v_mov_b64_e32 v[6:7], v[18:19]
	s_and_saveexec_b64 s[40:41], s[2:3]
	s_cbranch_execz .LBB21_12
; %bb.9:                                ;   in Loop: Header=BB21_8 Depth=1
	v_mov_b32_e32 v6, 0
	s_mov_b64 s[42:43], 0
	v_mov_b64_e32 v[8:9], v[22:23]
	v_mov_b32_e32 v19, v38
	v_mov_b32_e32 v30, v0
	;; [unrolled: 1-line block ×3, first 2 shown]
.LBB21_10:                              ;   Parent Loop BB21_8 Depth=1
                                        ; =>  This Inner Loop Header: Depth=2
	global_load_dwordx2 v[32:33], v[8:9], off offset:-4
	ds_read_b64 v[34:35], v19
	v_add_u32_e32 v30, 0x80, v30
	v_cmp_le_i32_e32 vcc, s16, v30
	v_add_u32_e32 v19, 0x400, v19
	v_lshl_add_u64 v[8:9], v[8:9], 0, s[30:31]
	s_or_b64 s[42:43], vcc, s[42:43]
	s_waitcnt vmcnt(0) lgkmcnt(0)
	v_mul_f32_e32 v36, v33, v35
	v_mul_f32_e32 v31, v33, v34
	v_fmac_f32_e32 v36, v32, v34
	v_fma_f32 v37, v32, v35, -v31
	v_pk_add_f32 v[6:7], v[6:7], v[36:37]
	s_andn2_b64 exec, exec, s[42:43]
	s_cbranch_execnz .LBB21_10
; %bb.11:                               ;   in Loop: Header=BB21_8 Depth=1
	s_or_b64 exec, exec, s[42:43]
.LBB21_12:                              ;   in Loop: Header=BB21_8 Depth=1
	s_or_b64 exec, exec, s[40:41]
	s_and_b64 vcc, exec, s[26:27]
	s_cbranch_vccz .LBB21_19
; %bb.13:                               ;   in Loop: Header=BB21_8 Depth=1
	v_cmp_ne_u32_e32 vcc, 63, v40
	s_nop 1
	v_addc_co_u32_e32 v8, vcc, 0, v39, vcc
	v_lshlrev_b32_e32 v9, 2, v8
	ds_bpermute_b32 v8, v9, v6
	ds_bpermute_b32 v9, v9, v7
	v_cmp_gt_u32_e32 vcc, 62, v40
	s_waitcnt lgkmcnt(0)
	v_pk_add_f32 v[8:9], v[6:7], v[8:9]
	v_cndmask_b32_e64 v19, 0, 2, vcc
	v_add_lshl_u32 v19, v19, v39, 2
	ds_bpermute_b32 v30, v19, v8
	ds_bpermute_b32 v31, v19, v9
	v_cmp_gt_u32_e32 vcc, 60, v40
	s_waitcnt lgkmcnt(0)
	v_pk_add_f32 v[8:9], v[8:9], v[30:31]
	v_cndmask_b32_e64 v19, 0, 4, vcc
	v_add_lshl_u32 v19, v19, v39, 2
	;; [unrolled: 7-line block ×4, first 2 shown]
	ds_bpermute_b32 v30, v19, v8
	ds_bpermute_b32 v31, v19, v9
	s_waitcnt lgkmcnt(0)
	v_pk_add_f32 v[8:9], v[8:9], v[30:31]
	ds_bpermute_b32 v30, v42, v8
	ds_bpermute_b32 v31, v42, v9
	s_waitcnt lgkmcnt(0)
	v_pk_add_f32 v[30:31], v[8:9], v[30:31]
	s_and_saveexec_b64 s[40:41], s[4:5]
; %bb.14:                               ;   in Loop: Header=BB21_8 Depth=1
	ds_write2_b32 v41, v30, v31 offset1:1
; %bb.15:                               ;   in Loop: Header=BB21_8 Depth=1
	s_or_b64 exec, exec, s[40:41]
	s_mov_b64 s[42:43], 0
	s_mov_b64 s[40:41], 0
	s_waitcnt lgkmcnt(0)
	s_barrier
                                        ; implicit-def: $vgpr8_vgpr9
	s_and_saveexec_b64 s[44:45], s[6:7]
	s_xor_b64 s[44:45], exec, s[44:45]
	s_cbranch_execz .LBB21_17
; %bb.16:                               ;   in Loop: Header=BB21_8 Depth=1
	ds_read_b64 v[8:9], v18 offset:16392
	s_mov_b64 s[40:41], exec
	s_waitcnt lgkmcnt(0)
	v_pk_add_f32 v[8:9], v[30:31], v[8:9]
.LBB21_17:                              ;   in Loop: Header=BB21_8 Depth=1
	s_or_b64 exec, exec, s[44:45]
	s_and_b64 vcc, exec, s[42:43]
	s_cbranch_vccnz .LBB21_20
.LBB21_18:                              ;   in Loop: Header=BB21_8 Depth=1
	v_mov_b64_e32 v[6:7], v[8:9]
	s_and_saveexec_b64 s[42:43], s[40:41]
	s_cbranch_execnz .LBB21_21
	s_branch .LBB21_22
.LBB21_19:                              ;   in Loop: Header=BB21_8 Depth=1
	s_mov_b64 s[40:41], 0
                                        ; implicit-def: $vgpr8_vgpr9
	s_cbranch_execz .LBB21_18
.LBB21_20:                              ;   in Loop: Header=BB21_8 Depth=1
	s_andn2_b64 s[40:41], s[40:41], exec
	s_and_b64 s[42:43], s[6:7], exec
	s_or_b64 s[40:41], s[40:41], s[42:43]
	s_and_saveexec_b64 s[42:43], s[40:41]
.LBB21_21:                              ;   in Loop: Header=BB21_8 Depth=1
	ds_write_b64 v18, v[6:7] offset:16384
.LBB21_22:                              ;   in Loop: Header=BB21_8 Depth=1
	s_or_b64 exec, exec, s[42:43]
	s_waitcnt lgkmcnt(0)
	s_barrier
	s_and_saveexec_b64 s[40:41], s[12:13]
	s_cbranch_execz .LBB21_7
; %bb.23:                               ;   in Loop: Header=BB21_8 Depth=1
	global_load_dwordx2 v[8:9], v18, s[0:1]
	ds_read_b64 v[30:31], v18 offset:16384
	s_mov_b64 s[44:45], s[28:29]
	v_mov_b64_e32 v[6:7], v[0:1]
	s_waitcnt vmcnt(0) lgkmcnt(0)
	v_mul_f32_e32 v19, v9, v31
	v_mul_f32_e32 v9, v9, v30
	v_fma_f32 v30, v30, -v8, -v19
	v_fma_f32 v32, v8, v31, -v9
	v_mov_b64_e32 v[8:9], v[20:21]
	s_and_saveexec_b64 s[42:43], s[8:9]
	s_cbranch_execz .LBB21_31
; %bb.24:                               ;   in Loop: Header=BB21_8 Depth=1
	s_mul_i32 s33, s25, s22
	s_mul_i32 s44, s24, s23
	v_mov_b32_e32 v6, s22
	s_add_i32 s33, s44, s33
	v_mad_u64_u32 v[6:7], s[44:45], s24, v6, v[10:11]
	v_add_u32_e32 v7, s33, v7
	v_lshl_add_u64 v[8:9], v[6:7], 0, v[12:13]
	v_cmp_ge_u64_e32 vcc, v[8:9], v[6:7]
	s_mov_b64 s[46:47], -1
	s_and_b64 s[48:49], vcc, s[18:19]
	v_mov_b64_e32 v[6:7], v[0:1]
	v_mov_b64_e32 v[8:9], v[20:21]
	s_and_saveexec_b64 s[44:45], s[48:49]
	s_cbranch_execz .LBB21_30
; %bb.25:                               ;   in Loop: Header=BB21_8 Depth=1
	v_mov_b64_e32 v[8:9], v[4:5]
	v_mov_b32_e32 v31, v30
	v_mov_b32_e32 v33, v32
	s_mov_b64 s[46:47], 0
	v_mov_b64_e32 v[34:35], v[14:15]
	v_mov_b64_e32 v[36:37], v[24:25]
	;; [unrolled: 1-line block ×3, first 2 shown]
.LBB21_26:                              ;   Parent Loop BB21_8 Depth=1
                                        ; =>  This Inner Loop Header: Depth=2
	global_load_dwordx2 v[52:53], v[36:37], off offset:-1028
	global_load_dwordx2 v[44:45], v[36:37], off offset:-4
	v_lshlrev_b32_e32 v19, 3, v6
	v_lshlrev_b32_e32 v43, 3, v8
	ds_read_b64 v[50:51], v19
	ds_read_b64 v[46:47], v43
	v_lshl_add_u64 v[34:35], v[34:35], 0, -2
	v_cmp_eq_u64_e32 vcc, 0, v[34:35]
	v_lshl_add_u64 v[8:9], v[8:9], 0, s[34:35]
	s_waitcnt lgkmcnt(1)
	v_mov_b32_e32 v48, v50
	s_waitcnt lgkmcnt(0)
	v_mov_b32_e32 v49, v46
	v_mov_b32_e32 v46, v51
	v_pk_mul_f32 v[50:51], v[32:33], v[46:47]
	v_pk_mul_f32 v[46:47], v[30:31], v[46:47]
	v_pk_fma_f32 v[50:51], v[30:31], v[48:49], v[50:51] neg_lo:[0,0,1] neg_hi:[0,0,1]
	v_pk_fma_f32 v[46:47], v[32:33], v[48:49], v[46:47]
	v_lshl_add_u64 v[6:7], v[6:7], 0, s[34:35]
	s_or_b64 s[46:47], vcc, s[46:47]
	s_waitcnt vmcnt(1)
	v_mov_b32_e32 v48, v52
	s_waitcnt vmcnt(0)
	v_mov_b32_e32 v49, v44
	v_mov_b32_e32 v44, v53
	v_pk_add_f32 v[48:49], v[48:49], v[50:51]
	v_pk_add_f32 v[44:45], v[46:47], v[44:45]
	v_mov_b32_e32 v46, v48
	v_mov_b32_e32 v47, v44
	;; [unrolled: 1-line block ×3, first 2 shown]
	global_store_dwordx2 v[36:37], v[46:47], off offset:-1028
	global_store_dwordx2 v[36:37], v[44:45], off offset:-4
	v_lshl_add_u64 v[36:37], v[36:37], 0, s[36:37]
	s_andn2_b64 exec, exec, s[46:47]
	s_cbranch_execnz .LBB21_26
; %bb.27:                               ;   in Loop: Header=BB21_8 Depth=1
	s_or_b64 exec, exec, s[46:47]
	s_mov_b64 s[46:47], 0
	s_and_saveexec_b64 s[48:49], s[10:11]
; %bb.28:                               ;   in Loop: Header=BB21_8 Depth=1
	s_mov_b64 s[46:47], exec
; %bb.29:                               ;   in Loop: Header=BB21_8 Depth=1
	s_or_b64 exec, exec, s[48:49]
	s_orn2_b64 s[46:47], s[46:47], exec
	v_mov_b64_e32 v[6:7], v[16:17]
	v_mov_b64_e32 v[8:9], v[26:27]
.LBB21_30:                              ;   in Loop: Header=BB21_8 Depth=1
	s_or_b64 exec, exec, s[44:45]
	s_andn2_b64 s[44:45], s[28:29], exec
	s_and_b64 s[46:47], s[46:47], exec
	s_or_b64 s[44:45], s[44:45], s[46:47]
.LBB21_31:                              ;   in Loop: Header=BB21_8 Depth=1
	s_or_b64 exec, exec, s[42:43]
	s_and_b64 exec, exec, s[44:45]
	s_cbranch_execz .LBB21_7
; %bb.32:                               ;   in Loop: Header=BB21_8 Depth=1
	v_mov_b32_e32 v33, v32
	v_mov_b32_e32 v31, v30
	v_lshlrev_b32_e32 v19, 3, v6
	v_lshl_add_u64 v[8:9], s[20:21], 0, v[8:9]
	s_mov_b64 s[42:43], 0
.LBB21_33:                              ;   Parent Loop BB21_8 Depth=1
                                        ; =>  This Inner Loop Header: Depth=2
	global_load_dwordx2 v[34:35], v[8:9], off
	ds_read_b64 v[36:37], v19
	v_lshl_add_u64 v[6:7], v[6:7], 0, s[38:39]
	v_cmp_le_i64_e32 vcc, s[16:17], v[6:7]
	v_add_u32_e32 v19, 0x400, v19
	s_or_b64 s[42:43], vcc, s[42:43]
	s_waitcnt lgkmcnt(0)
	v_pk_mul_f32 v[44:45], v[32:33], v[36:37] op_sel:[0,1] op_sel_hi:[1,0]
	s_nop 0
	v_pk_fma_f32 v[46:47], v[30:31], v[36:37], v[44:45] neg_lo:[0,0,1] neg_hi:[0,0,1]
	v_pk_fma_f32 v[36:37], v[30:31], v[36:37], v[44:45]
	s_nop 0
	v_mov_b32_e32 v47, v37
	s_waitcnt vmcnt(0)
	v_pk_add_f32 v[34:35], v[34:35], v[46:47]
	global_store_dwordx2 v[8:9], v[34:35], off
	v_lshl_add_u64 v[8:9], v[8:9], 0, s[30:31]
	s_andn2_b64 exec, exec, s[42:43]
	s_cbranch_execnz .LBB21_33
	s_branch .LBB21_7
.LBB21_34:
	s_endpgm
	.section	.rodata,"a",@progbits
	.p2align	6, 0x0
	.amdhsa_kernel _ZN9rocsolver6v33100L22larf_left_kernel_smallILi128E19rocblas_complex_numIfElPS3_EEvT1_S5_T2_lS5_lPKT0_lS6_lS5_l
		.amdhsa_group_segment_fixed_size 17408
		.amdhsa_private_segment_fixed_size 0
		.amdhsa_kernarg_size 96
		.amdhsa_user_sgpr_count 2
		.amdhsa_user_sgpr_dispatch_ptr 0
		.amdhsa_user_sgpr_queue_ptr 0
		.amdhsa_user_sgpr_kernarg_segment_ptr 1
		.amdhsa_user_sgpr_dispatch_id 0
		.amdhsa_user_sgpr_kernarg_preload_length 0
		.amdhsa_user_sgpr_kernarg_preload_offset 0
		.amdhsa_user_sgpr_private_segment_size 0
		.amdhsa_uses_dynamic_stack 0
		.amdhsa_enable_private_segment 0
		.amdhsa_system_sgpr_workgroup_id_x 1
		.amdhsa_system_sgpr_workgroup_id_y 1
		.amdhsa_system_sgpr_workgroup_id_z 0
		.amdhsa_system_sgpr_workgroup_info 0
		.amdhsa_system_vgpr_workitem_id 0
		.amdhsa_next_free_vgpr 81
		.amdhsa_next_free_sgpr 96
		.amdhsa_accum_offset 56
		.amdhsa_reserve_vcc 1
		.amdhsa_float_round_mode_32 0
		.amdhsa_float_round_mode_16_64 0
		.amdhsa_float_denorm_mode_32 3
		.amdhsa_float_denorm_mode_16_64 3
		.amdhsa_dx10_clamp 1
		.amdhsa_ieee_mode 1
		.amdhsa_fp16_overflow 0
		.amdhsa_tg_split 0
		.amdhsa_exception_fp_ieee_invalid_op 0
		.amdhsa_exception_fp_denorm_src 0
		.amdhsa_exception_fp_ieee_div_zero 0
		.amdhsa_exception_fp_ieee_overflow 0
		.amdhsa_exception_fp_ieee_underflow 0
		.amdhsa_exception_fp_ieee_inexact 0
		.amdhsa_exception_int_div_zero 0
	.end_amdhsa_kernel
	.section	.text._ZN9rocsolver6v33100L22larf_left_kernel_smallILi128E19rocblas_complex_numIfElPS3_EEvT1_S5_T2_lS5_lPKT0_lS6_lS5_l,"axG",@progbits,_ZN9rocsolver6v33100L22larf_left_kernel_smallILi128E19rocblas_complex_numIfElPS3_EEvT1_S5_T2_lS5_lPKT0_lS6_lS5_l,comdat
.Lfunc_end21:
	.size	_ZN9rocsolver6v33100L22larf_left_kernel_smallILi128E19rocblas_complex_numIfElPS3_EEvT1_S5_T2_lS5_lPKT0_lS6_lS5_l, .Lfunc_end21-_ZN9rocsolver6v33100L22larf_left_kernel_smallILi128E19rocblas_complex_numIfElPS3_EEvT1_S5_T2_lS5_lPKT0_lS6_lS5_l
                                        ; -- End function
	.set _ZN9rocsolver6v33100L22larf_left_kernel_smallILi128E19rocblas_complex_numIfElPS3_EEvT1_S5_T2_lS5_lPKT0_lS6_lS5_l.num_vgpr, 54
	.set _ZN9rocsolver6v33100L22larf_left_kernel_smallILi128E19rocblas_complex_numIfElPS3_EEvT1_S5_T2_lS5_lPKT0_lS6_lS5_l.num_agpr, 0
	.set _ZN9rocsolver6v33100L22larf_left_kernel_smallILi128E19rocblas_complex_numIfElPS3_EEvT1_S5_T2_lS5_lPKT0_lS6_lS5_l.numbered_sgpr, 50
	.set _ZN9rocsolver6v33100L22larf_left_kernel_smallILi128E19rocblas_complex_numIfElPS3_EEvT1_S5_T2_lS5_lPKT0_lS6_lS5_l.num_named_barrier, 0
	.set _ZN9rocsolver6v33100L22larf_left_kernel_smallILi128E19rocblas_complex_numIfElPS3_EEvT1_S5_T2_lS5_lPKT0_lS6_lS5_l.private_seg_size, 0
	.set _ZN9rocsolver6v33100L22larf_left_kernel_smallILi128E19rocblas_complex_numIfElPS3_EEvT1_S5_T2_lS5_lPKT0_lS6_lS5_l.uses_vcc, 1
	.set _ZN9rocsolver6v33100L22larf_left_kernel_smallILi128E19rocblas_complex_numIfElPS3_EEvT1_S5_T2_lS5_lPKT0_lS6_lS5_l.uses_flat_scratch, 0
	.set _ZN9rocsolver6v33100L22larf_left_kernel_smallILi128E19rocblas_complex_numIfElPS3_EEvT1_S5_T2_lS5_lPKT0_lS6_lS5_l.has_dyn_sized_stack, 0
	.set _ZN9rocsolver6v33100L22larf_left_kernel_smallILi128E19rocblas_complex_numIfElPS3_EEvT1_S5_T2_lS5_lPKT0_lS6_lS5_l.has_recursion, 0
	.set _ZN9rocsolver6v33100L22larf_left_kernel_smallILi128E19rocblas_complex_numIfElPS3_EEvT1_S5_T2_lS5_lPKT0_lS6_lS5_l.has_indirect_call, 0
	.section	.AMDGPU.csdata,"",@progbits
; Kernel info:
; codeLenInByte = 1932
; TotalNumSgprs: 56
; NumVgprs: 54
; NumAgprs: 0
; TotalNumVgprs: 54
; ScratchSize: 0
; MemoryBound: 0
; FloatMode: 240
; IeeeMode: 1
; LDSByteSize: 17408 bytes/workgroup (compile time only)
; SGPRBlocks: 12
; VGPRBlocks: 10
; NumSGPRsForWavesPerEU: 102
; NumVGPRsForWavesPerEU: 81
; AccumOffset: 56
; Occupancy: 5
; WaveLimiterHint : 1
; COMPUTE_PGM_RSRC2:SCRATCH_EN: 0
; COMPUTE_PGM_RSRC2:USER_SGPR: 2
; COMPUTE_PGM_RSRC2:TRAP_HANDLER: 0
; COMPUTE_PGM_RSRC2:TGID_X_EN: 1
; COMPUTE_PGM_RSRC2:TGID_Y_EN: 1
; COMPUTE_PGM_RSRC2:TGID_Z_EN: 0
; COMPUTE_PGM_RSRC2:TIDIG_COMP_CNT: 0
; COMPUTE_PGM_RSRC3_GFX90A:ACCUM_OFFSET: 13
; COMPUTE_PGM_RSRC3_GFX90A:TG_SPLIT: 0
	.section	.text._ZN9rocsolver6v33100L22larf_left_kernel_smallILi256E19rocblas_complex_numIfElPS3_EEvT1_S5_T2_lS5_lPKT0_lS6_lS5_l,"axG",@progbits,_ZN9rocsolver6v33100L22larf_left_kernel_smallILi256E19rocblas_complex_numIfElPS3_EEvT1_S5_T2_lS5_lPKT0_lS6_lS5_l,comdat
	.globl	_ZN9rocsolver6v33100L22larf_left_kernel_smallILi256E19rocblas_complex_numIfElPS3_EEvT1_S5_T2_lS5_lPKT0_lS6_lS5_l ; -- Begin function _ZN9rocsolver6v33100L22larf_left_kernel_smallILi256E19rocblas_complex_numIfElPS3_EEvT1_S5_T2_lS5_lPKT0_lS6_lS5_l
	.p2align	8
	.type	_ZN9rocsolver6v33100L22larf_left_kernel_smallILi256E19rocblas_complex_numIfElPS3_EEvT1_S5_T2_lS5_lPKT0_lS6_lS5_l,@function
_ZN9rocsolver6v33100L22larf_left_kernel_smallILi256E19rocblas_complex_numIfElPS3_EEvT1_S5_T2_lS5_lPKT0_lS6_lS5_l: ; @_ZN9rocsolver6v33100L22larf_left_kernel_smallILi256E19rocblas_complex_numIfElPS3_EEvT1_S5_T2_lS5_lPKT0_lS6_lS5_l
; %bb.0:
	s_load_dwordx16 s[16:31], s[0:1], 0x0
	s_mov_b32 s14, s3
	s_mov_b64 s[6:7], 0
	s_waitcnt lgkmcnt(0)
	v_cmp_gt_i64_e64 s[4:5], s[24:25], 0
	s_and_b64 vcc, exec, s[4:5]
	s_cbranch_vccnz .LBB22_2
; %bb.1:
	s_sub_u32 s3, 1, s16
	s_subb_u32 s4, 0, s17
	s_mul_i32 s4, s24, s4
	s_mul_hi_u32 s5, s24, s3
	s_add_i32 s4, s5, s4
	s_mul_i32 s5, s25, s3
	s_add_i32 s7, s4, s5
	s_mul_i32 s6, s24, s3
.LBB22_2:
	v_mov_b32_e32 v1, 0
	v_cmp_gt_i64_e64 s[12:13], s[16:17], v[0:1]
	v_lshlrev_b32_e32 v38, 3, v0
	s_and_saveexec_b64 s[4:5], s[12:13]
	s_cbranch_execz .LBB22_5
; %bb.3:
	v_mad_u64_u32 v[2:3], s[10:11], s24, v0, 0
	s_mul_i32 s3, s27, s2
	s_mul_hi_u32 s8, s26, s2
	v_mov_b32_e32 v4, v3
	s_add_i32 s9, s8, s3
	s_mul_i32 s8, s26, s2
	v_mad_u64_u32 v[4:5], s[10:11], s25, v0, v[4:5]
	s_lshl_b64 s[8:9], s[8:9], 3
	s_lshl_b64 s[6:7], s[6:7], 3
	;; [unrolled: 1-line block ×3, first 2 shown]
	s_add_u32 s3, s20, s10
	s_addc_u32 s10, s21, s11
	s_add_u32 s3, s3, s6
	s_addc_u32 s7, s10, s7
	s_add_u32 s6, s3, s8
	v_mov_b32_e32 v3, v4
	s_addc_u32 s7, s7, s9
	v_lshl_add_u64 v[2:3], v[2:3], 3, s[6:7]
	s_lshl_b64 s[6:7], s[24:25], 11
	v_lshlrev_b32_e32 v6, 3, v0
	s_mov_b64 s[8:9], 0
	s_mov_b64 s[10:11], 0x100
	v_mov_b64_e32 v[4:5], v[0:1]
.LBB22_4:                               ; =>This Inner Loop Header: Depth=1
	global_load_dwordx2 v[8:9], v[2:3], off
	v_lshl_add_u64 v[4:5], v[4:5], 0, s[10:11]
	v_cmp_le_i64_e32 vcc, s[16:17], v[4:5]
	v_lshl_add_u64 v[2:3], v[2:3], 0, s[6:7]
	s_or_b64 s[8:9], vcc, s[8:9]
	s_waitcnt vmcnt(0)
	ds_write_b64 v6, v[8:9]
	v_add_u32_e32 v6, 0x800, v6
	s_andn2_b64 exec, exec, s[8:9]
	s_cbranch_execnz .LBB22_4
.LBB22_5:
	s_or_b64 exec, exec, s[4:5]
	s_mov_b32 s15, 0
	v_mov_b64_e32 v[2:3], s[14:15]
	v_cmp_le_i64_e32 vcc, s[18:19], v[2:3]
	s_waitcnt lgkmcnt(0)
	s_barrier
	s_cbranch_vccnz .LBB22_34
; %bb.6:
	s_load_dwordx8 s[20:27], s[0:1], 0x40
	s_mul_i32 s0, s31, s2
	s_mul_hi_u32 s1, s30, s2
	s_add_i32 s1, s1, s0
	s_mul_i32 s0, s30, s2
	s_waitcnt lgkmcnt(0)
	s_mul_i32 s3, s27, s2
	s_mul_hi_u32 s4, s26, s2
	s_add_i32 s35, s4, s3
	s_lshl_b64 s[0:1], s[0:1], 3
	s_add_u32 s0, s28, s0
	s_addc_u32 s1, s29, s1
	s_cmp_gt_i32 s16, 1
	s_mul_i32 s8, s25, s14
	s_mul_hi_u32 s9, s24, s14
	s_mul_i32 s34, s26, s2
	s_cselect_b64 s[26:27], -1, 0
	s_add_i32 s31, s9, s8
	s_mul_i32 s30, s24, s14
	s_add_u32 s8, s34, s30
	s_addc_u32 s9, s35, s31
	s_add_u32 s8, s8, s22
	s_addc_u32 s9, s9, s23
	s_lshl_b64 s[24:25], s[24:25], 9
	s_lshl_b64 s[34:35], s[34:35], 3
	;; [unrolled: 1-line block ×3, first 2 shown]
	v_and_b32_e32 v2, 63, v0
	s_add_u32 s30, s34, s30
	v_cmp_eq_u32_e64 s[4:5], 0, v2
	v_mov_b32_e32 v3, -1
	v_not_b32_e32 v2, v0
	s_addc_u32 s31, s35, s31
	s_lshl_b64 s[22:23], s[22:23], 3
	v_lshl_add_u64 v[2:3], s[16:17], 0, v[2:3]
	s_add_u32 s22, s30, s22
	v_lshl_add_u64 v[4:5], s[8:9], 0, v[0:1]
	v_lshrrev_b64 v[6:7], 8, v[2:3]
	s_addc_u32 s23, s31, s23
	v_lshl_add_u64 v[6:7], v[6:7], 0, 1
	v_lshl_add_u64 v[10:11], v[4:5], 3, s[20:21]
	s_mov_b32 s10, -1
	v_mov_b32_e32 v18, 0
	s_add_u32 s20, s20, s22
	s_brev_b32 s11, -8
	v_and_b32_e32 v14, -2, v6
	v_mov_b32_e32 v15, v7
	v_lshlrev_b32_e32 v20, 3, v0
	v_mov_b32_e32 v21, v18
	s_addc_u32 s21, s21, s23
	v_cmp_lt_u64_e32 vcc, s[10:11], v[2:3]
	v_cmp_ne_u64_e64 s[10:11], v[6:7], v[14:15]
	v_lshl_add_u64 v[6:7], s[20:21], 0, v[20:21]
	s_mov_b64 s[22:23], 0x804
	s_mov_b64 s[8:9], 0x300
	v_lshlrev_b64 v[16:17], 8, v[14:15]
	v_lshl_add_u64 v[22:23], v[6:7], 0, 4
	v_lshl_add_u64 v[24:25], v[6:7], 0, s[22:23]
	v_mbcnt_lo_u32_b32 v6, -1, 0
	v_lshrrev_b32_e32 v8, 3, v0
	v_cmp_gt_u64_e64 s[28:29], s[8:9], v[2:3]
	s_mov_b64 s[8:9], 0x2ff
	v_lshlrev_b64 v[12:13], 3, v[2:3]
	v_or_b32_e32 v16, v16, v0
	v_mbcnt_hi_u32_b32 v39, -1, v6
	v_mov_b32_e32 v6, 0x80
	v_cmp_gt_i32_e64 s[2:3], s16, v0
	v_cmp_eq_u32_e64 s[6:7], 0, v0
	v_cmp_lt_u64_e64 s[8:9], s[8:9], v[2:3]
	v_and_b32_e32 v12, 0xfffff800, v12
	v_or_b32_e32 v4, 0x100, v0
	v_mov_b32_e32 v2, v0
	v_mov_b32_e32 v3, v18
	;; [unrolled: 1-line block ×3, first 2 shown]
	s_mov_b64 s[22:23], 0
	s_mov_b64 s[30:31], 0x800
	v_and_b32_e32 v40, 63, v39
	v_or_b32_e32 v41, 0x4000, v8
	v_mov_b32_e32 v42, 0x4008
	s_mov_b64 s[34:35], 0x200
	s_mov_b64 s[36:37], 0x1000
	v_lshlrev_b64 v[26:27], 3, v[16:17]
	s_mov_b64 s[38:39], 0x100
	v_mov_b64_e32 v[28:29], s[18:19]
	v_lshl_or_b32 v43, v39, 2, v6
	s_xor_b64 s[18:19], vcc, -1
	s_branch .LBB22_8
.LBB22_7:                               ;   in Loop: Header=BB22_8 Depth=1
	s_or_b64 exec, exec, s[40:41]
	s_add_u32 s14, s14, 64
	s_addc_u32 s15, s15, 0
	s_add_u32 s22, s22, 1
	s_addc_u32 s23, s23, 0
	s_add_u32 s20, s20, s24
	v_cmp_ge_i64_e32 vcc, s[14:15], v[28:29]
	v_lshl_add_u64 v[22:23], v[22:23], 0, s[24:25]
	v_lshl_add_u64 v[24:25], v[24:25], 0, s[24:25]
	s_addc_u32 s21, s21, s25
	s_cbranch_vccnz .LBB22_34
.LBB22_8:                               ; =>This Loop Header: Depth=1
                                        ;     Child Loop BB22_10 Depth 2
                                        ;     Child Loop BB22_26 Depth 2
	;; [unrolled: 1-line block ×3, first 2 shown]
	v_mov_b32_e32 v19, v18
	v_mov_b64_e32 v[6:7], v[18:19]
	s_and_saveexec_b64 s[40:41], s[2:3]
	s_cbranch_execz .LBB22_12
; %bb.9:                                ;   in Loop: Header=BB22_8 Depth=1
	v_mov_b32_e32 v7, 0
	s_mov_b64 s[42:43], 0
	v_mov_b64_e32 v[8:9], v[22:23]
	v_mov_b32_e32 v19, v38
	v_mov_b32_e32 v30, v0
	;; [unrolled: 1-line block ×3, first 2 shown]
.LBB22_10:                              ;   Parent Loop BB22_8 Depth=1
                                        ; =>  This Inner Loop Header: Depth=2
	global_load_dwordx2 v[32:33], v[8:9], off offset:-4
	ds_read_b64 v[34:35], v19
	v_add_u32_e32 v30, 0x100, v30
	v_cmp_le_i32_e32 vcc, s16, v30
	v_add_u32_e32 v19, 0x800, v19
	v_lshl_add_u64 v[8:9], v[8:9], 0, s[30:31]
	s_or_b64 s[42:43], vcc, s[42:43]
	s_waitcnt vmcnt(0) lgkmcnt(0)
	v_mul_f32_e32 v31, v33, v35
	v_mul_f32_e32 v33, v33, v34
	v_fmac_f32_e32 v31, v32, v34
	v_fma_f32 v32, v32, v35, -v33
	v_add_f32_e32 v6, v6, v31
	v_add_f32_e32 v7, v7, v32
	s_andn2_b64 exec, exec, s[42:43]
	s_cbranch_execnz .LBB22_10
; %bb.11:                               ;   in Loop: Header=BB22_8 Depth=1
	s_or_b64 exec, exec, s[42:43]
.LBB22_12:                              ;   in Loop: Header=BB22_8 Depth=1
	s_or_b64 exec, exec, s[40:41]
	s_and_b64 vcc, exec, s[26:27]
	s_cbranch_vccz .LBB22_19
; %bb.13:                               ;   in Loop: Header=BB22_8 Depth=1
	v_cmp_ne_u32_e32 vcc, 63, v40
	s_nop 1
	v_addc_co_u32_e32 v8, vcc, 0, v39, vcc
	v_lshlrev_b32_e32 v9, 2, v8
	ds_bpermute_b32 v8, v9, v6
	ds_bpermute_b32 v9, v9, v7
	v_cmp_gt_u32_e32 vcc, 62, v40
	s_waitcnt lgkmcnt(0)
	v_pk_add_f32 v[8:9], v[6:7], v[8:9]
	v_cndmask_b32_e64 v19, 0, 2, vcc
	v_add_lshl_u32 v19, v19, v39, 2
	ds_bpermute_b32 v30, v19, v8
	ds_bpermute_b32 v31, v19, v9
	v_cmp_gt_u32_e32 vcc, 60, v40
	s_waitcnt lgkmcnt(0)
	v_pk_add_f32 v[8:9], v[8:9], v[30:31]
	v_cndmask_b32_e64 v19, 0, 4, vcc
	v_add_lshl_u32 v19, v19, v39, 2
	;; [unrolled: 7-line block ×4, first 2 shown]
	ds_bpermute_b32 v30, v19, v8
	ds_bpermute_b32 v31, v19, v9
	s_waitcnt lgkmcnt(0)
	v_pk_add_f32 v[8:9], v[8:9], v[30:31]
	ds_bpermute_b32 v30, v43, v8
	ds_bpermute_b32 v31, v43, v9
	s_waitcnt lgkmcnt(0)
	v_pk_add_f32 v[30:31], v[8:9], v[30:31]
	s_and_saveexec_b64 s[40:41], s[4:5]
; %bb.14:                               ;   in Loop: Header=BB22_8 Depth=1
	ds_write2_b32 v41, v30, v31 offset1:1
; %bb.15:                               ;   in Loop: Header=BB22_8 Depth=1
	s_or_b64 exec, exec, s[40:41]
	s_mov_b64 s[42:43], 0
	s_mov_b64 s[40:41], 0
	s_waitcnt lgkmcnt(0)
	s_barrier
                                        ; implicit-def: $vgpr8_vgpr9
	s_and_saveexec_b64 s[44:45], s[6:7]
	s_xor_b64 s[44:45], exec, s[44:45]
	s_cbranch_execz .LBB22_17
; %bb.16:                               ;   in Loop: Header=BB22_8 Depth=1
	ds_read2_b64 v[32:35], v42 offset1:1
	ds_read_b64 v[8:9], v18 offset:16408
	s_mov_b64 s[40:41], exec
	s_waitcnt lgkmcnt(1)
	v_pk_add_f32 v[30:31], v[30:31], v[32:33]
	s_nop 0
	v_pk_add_f32 v[30:31], v[30:31], v[34:35]
	s_waitcnt lgkmcnt(0)
	v_pk_add_f32 v[8:9], v[30:31], v[8:9]
.LBB22_17:                              ;   in Loop: Header=BB22_8 Depth=1
	s_or_b64 exec, exec, s[44:45]
	s_and_b64 vcc, exec, s[42:43]
	s_cbranch_vccnz .LBB22_20
.LBB22_18:                              ;   in Loop: Header=BB22_8 Depth=1
	v_mov_b64_e32 v[6:7], v[8:9]
	s_and_saveexec_b64 s[42:43], s[40:41]
	s_cbranch_execnz .LBB22_21
	s_branch .LBB22_22
.LBB22_19:                              ;   in Loop: Header=BB22_8 Depth=1
	s_mov_b64 s[40:41], 0
                                        ; implicit-def: $vgpr8_vgpr9
	s_cbranch_execz .LBB22_18
.LBB22_20:                              ;   in Loop: Header=BB22_8 Depth=1
	s_andn2_b64 s[40:41], s[40:41], exec
	s_and_b64 s[42:43], s[6:7], exec
	s_or_b64 s[40:41], s[40:41], s[42:43]
	s_and_saveexec_b64 s[42:43], s[40:41]
.LBB22_21:                              ;   in Loop: Header=BB22_8 Depth=1
	ds_write_b64 v18, v[6:7] offset:16384
.LBB22_22:                              ;   in Loop: Header=BB22_8 Depth=1
	s_or_b64 exec, exec, s[42:43]
	s_waitcnt lgkmcnt(0)
	s_barrier
	s_and_saveexec_b64 s[40:41], s[12:13]
	s_cbranch_execz .LBB22_7
; %bb.23:                               ;   in Loop: Header=BB22_8 Depth=1
	global_load_dwordx2 v[8:9], v18, s[0:1]
	ds_read_b64 v[30:31], v18 offset:16384
	s_mov_b64 s[44:45], s[28:29]
	v_mov_b64_e32 v[6:7], v[0:1]
	s_waitcnt vmcnt(0) lgkmcnt(0)
	v_mul_f32_e32 v19, v9, v31
	v_mul_f32_e32 v9, v9, v30
	v_fma_f32 v30, v30, -v8, -v19
	v_fma_f32 v32, v8, v31, -v9
	v_mov_b64_e32 v[8:9], v[20:21]
	s_and_saveexec_b64 s[42:43], s[8:9]
	s_cbranch_execz .LBB22_31
; %bb.24:                               ;   in Loop: Header=BB22_8 Depth=1
	s_mul_i32 s33, s25, s22
	s_mul_i32 s44, s24, s23
	v_mov_b32_e32 v6, s22
	s_add_i32 s33, s44, s33
	v_mad_u64_u32 v[6:7], s[44:45], s24, v6, v[10:11]
	v_add_u32_e32 v7, s33, v7
	v_lshl_add_u64 v[8:9], v[6:7], 0, v[12:13]
	v_cmp_ge_u64_e32 vcc, v[8:9], v[6:7]
	s_mov_b64 s[46:47], -1
	s_and_b64 s[48:49], vcc, s[18:19]
	v_mov_b64_e32 v[6:7], v[0:1]
	v_mov_b64_e32 v[8:9], v[20:21]
	s_and_saveexec_b64 s[44:45], s[48:49]
	s_cbranch_execz .LBB22_30
; %bb.25:                               ;   in Loop: Header=BB22_8 Depth=1
	v_mov_b64_e32 v[8:9], v[4:5]
	v_mov_b32_e32 v31, v30
	v_mov_b32_e32 v33, v32
	s_mov_b64 s[46:47], 0
	v_mov_b64_e32 v[34:35], v[14:15]
	v_mov_b64_e32 v[36:37], v[24:25]
	;; [unrolled: 1-line block ×3, first 2 shown]
.LBB22_26:                              ;   Parent Loop BB22_8 Depth=1
                                        ; =>  This Inner Loop Header: Depth=2
	global_load_dwordx2 v[52:53], v[36:37], off offset:-2052
	global_load_dwordx2 v[44:45], v[36:37], off offset:-4
	v_lshlrev_b32_e32 v19, 3, v6
	v_lshlrev_b32_e32 v46, 3, v8
	ds_read_b64 v[50:51], v19
	ds_read_b64 v[46:47], v46
	v_lshl_add_u64 v[34:35], v[34:35], 0, -2
	v_cmp_eq_u64_e32 vcc, 0, v[34:35]
	v_lshl_add_u64 v[8:9], v[8:9], 0, s[34:35]
	s_waitcnt lgkmcnt(1)
	v_mov_b32_e32 v48, v50
	s_waitcnt lgkmcnt(0)
	v_mov_b32_e32 v49, v46
	v_mov_b32_e32 v46, v51
	v_pk_mul_f32 v[50:51], v[32:33], v[46:47]
	v_pk_mul_f32 v[46:47], v[30:31], v[46:47]
	v_pk_fma_f32 v[50:51], v[30:31], v[48:49], v[50:51] neg_lo:[0,0,1] neg_hi:[0,0,1]
	v_pk_fma_f32 v[46:47], v[32:33], v[48:49], v[46:47]
	v_lshl_add_u64 v[6:7], v[6:7], 0, s[34:35]
	s_or_b64 s[46:47], vcc, s[46:47]
	s_waitcnt vmcnt(1)
	v_mov_b32_e32 v48, v52
	s_waitcnt vmcnt(0)
	v_mov_b32_e32 v49, v44
	v_mov_b32_e32 v44, v53
	v_pk_add_f32 v[48:49], v[48:49], v[50:51]
	v_pk_add_f32 v[44:45], v[46:47], v[44:45]
	v_mov_b32_e32 v46, v48
	v_mov_b32_e32 v47, v44
	;; [unrolled: 1-line block ×3, first 2 shown]
	global_store_dwordx2 v[36:37], v[46:47], off offset:-2052
	global_store_dwordx2 v[36:37], v[44:45], off offset:-4
	v_lshl_add_u64 v[36:37], v[36:37], 0, s[36:37]
	s_andn2_b64 exec, exec, s[46:47]
	s_cbranch_execnz .LBB22_26
; %bb.27:                               ;   in Loop: Header=BB22_8 Depth=1
	s_or_b64 exec, exec, s[46:47]
	s_mov_b64 s[46:47], 0
	s_and_saveexec_b64 s[48:49], s[10:11]
; %bb.28:                               ;   in Loop: Header=BB22_8 Depth=1
	s_mov_b64 s[46:47], exec
; %bb.29:                               ;   in Loop: Header=BB22_8 Depth=1
	s_or_b64 exec, exec, s[48:49]
	s_orn2_b64 s[46:47], s[46:47], exec
	v_mov_b64_e32 v[6:7], v[16:17]
	v_mov_b64_e32 v[8:9], v[26:27]
.LBB22_30:                              ;   in Loop: Header=BB22_8 Depth=1
	s_or_b64 exec, exec, s[44:45]
	s_andn2_b64 s[44:45], s[28:29], exec
	s_and_b64 s[46:47], s[46:47], exec
	s_or_b64 s[44:45], s[44:45], s[46:47]
.LBB22_31:                              ;   in Loop: Header=BB22_8 Depth=1
	s_or_b64 exec, exec, s[42:43]
	s_and_b64 exec, exec, s[44:45]
	s_cbranch_execz .LBB22_7
; %bb.32:                               ;   in Loop: Header=BB22_8 Depth=1
	v_mov_b32_e32 v33, v32
	v_mov_b32_e32 v31, v30
	v_lshlrev_b32_e32 v19, 3, v6
	v_lshl_add_u64 v[8:9], s[20:21], 0, v[8:9]
	s_mov_b64 s[42:43], 0
.LBB22_33:                              ;   Parent Loop BB22_8 Depth=1
                                        ; =>  This Inner Loop Header: Depth=2
	global_load_dwordx2 v[34:35], v[8:9], off
	ds_read_b64 v[36:37], v19
	v_lshl_add_u64 v[6:7], v[6:7], 0, s[38:39]
	v_cmp_le_i64_e32 vcc, s[16:17], v[6:7]
	v_add_u32_e32 v19, 0x800, v19
	s_or_b64 s[42:43], vcc, s[42:43]
	s_waitcnt lgkmcnt(0)
	v_pk_mul_f32 v[44:45], v[32:33], v[36:37] op_sel:[0,1] op_sel_hi:[1,0]
	s_nop 0
	v_pk_fma_f32 v[46:47], v[30:31], v[36:37], v[44:45] neg_lo:[0,0,1] neg_hi:[0,0,1]
	v_pk_fma_f32 v[36:37], v[30:31], v[36:37], v[44:45]
	s_nop 0
	v_mov_b32_e32 v47, v37
	s_waitcnt vmcnt(0)
	v_pk_add_f32 v[34:35], v[34:35], v[46:47]
	global_store_dwordx2 v[8:9], v[34:35], off
	v_lshl_add_u64 v[8:9], v[8:9], 0, s[30:31]
	s_andn2_b64 exec, exec, s[42:43]
	s_cbranch_execnz .LBB22_33
	s_branch .LBB22_7
.LBB22_34:
	s_endpgm
	.section	.rodata,"a",@progbits
	.p2align	6, 0x0
	.amdhsa_kernel _ZN9rocsolver6v33100L22larf_left_kernel_smallILi256E19rocblas_complex_numIfElPS3_EEvT1_S5_T2_lS5_lPKT0_lS6_lS5_l
		.amdhsa_group_segment_fixed_size 18432
		.amdhsa_private_segment_fixed_size 0
		.amdhsa_kernarg_size 96
		.amdhsa_user_sgpr_count 2
		.amdhsa_user_sgpr_dispatch_ptr 0
		.amdhsa_user_sgpr_queue_ptr 0
		.amdhsa_user_sgpr_kernarg_segment_ptr 1
		.amdhsa_user_sgpr_dispatch_id 0
		.amdhsa_user_sgpr_kernarg_preload_length 0
		.amdhsa_user_sgpr_kernarg_preload_offset 0
		.amdhsa_user_sgpr_private_segment_size 0
		.amdhsa_uses_dynamic_stack 0
		.amdhsa_enable_private_segment 0
		.amdhsa_system_sgpr_workgroup_id_x 1
		.amdhsa_system_sgpr_workgroup_id_y 1
		.amdhsa_system_sgpr_workgroup_id_z 0
		.amdhsa_system_sgpr_workgroup_info 0
		.amdhsa_system_vgpr_workitem_id 0
		.amdhsa_next_free_vgpr 54
		.amdhsa_next_free_sgpr 50
		.amdhsa_accum_offset 56
		.amdhsa_reserve_vcc 1
		.amdhsa_float_round_mode_32 0
		.amdhsa_float_round_mode_16_64 0
		.amdhsa_float_denorm_mode_32 3
		.amdhsa_float_denorm_mode_16_64 3
		.amdhsa_dx10_clamp 1
		.amdhsa_ieee_mode 1
		.amdhsa_fp16_overflow 0
		.amdhsa_tg_split 0
		.amdhsa_exception_fp_ieee_invalid_op 0
		.amdhsa_exception_fp_denorm_src 0
		.amdhsa_exception_fp_ieee_div_zero 0
		.amdhsa_exception_fp_ieee_overflow 0
		.amdhsa_exception_fp_ieee_underflow 0
		.amdhsa_exception_fp_ieee_inexact 0
		.amdhsa_exception_int_div_zero 0
	.end_amdhsa_kernel
	.section	.text._ZN9rocsolver6v33100L22larf_left_kernel_smallILi256E19rocblas_complex_numIfElPS3_EEvT1_S5_T2_lS5_lPKT0_lS6_lS5_l,"axG",@progbits,_ZN9rocsolver6v33100L22larf_left_kernel_smallILi256E19rocblas_complex_numIfElPS3_EEvT1_S5_T2_lS5_lPKT0_lS6_lS5_l,comdat
.Lfunc_end22:
	.size	_ZN9rocsolver6v33100L22larf_left_kernel_smallILi256E19rocblas_complex_numIfElPS3_EEvT1_S5_T2_lS5_lPKT0_lS6_lS5_l, .Lfunc_end22-_ZN9rocsolver6v33100L22larf_left_kernel_smallILi256E19rocblas_complex_numIfElPS3_EEvT1_S5_T2_lS5_lPKT0_lS6_lS5_l
                                        ; -- End function
	.set _ZN9rocsolver6v33100L22larf_left_kernel_smallILi256E19rocblas_complex_numIfElPS3_EEvT1_S5_T2_lS5_lPKT0_lS6_lS5_l.num_vgpr, 54
	.set _ZN9rocsolver6v33100L22larf_left_kernel_smallILi256E19rocblas_complex_numIfElPS3_EEvT1_S5_T2_lS5_lPKT0_lS6_lS5_l.num_agpr, 0
	.set _ZN9rocsolver6v33100L22larf_left_kernel_smallILi256E19rocblas_complex_numIfElPS3_EEvT1_S5_T2_lS5_lPKT0_lS6_lS5_l.numbered_sgpr, 50
	.set _ZN9rocsolver6v33100L22larf_left_kernel_smallILi256E19rocblas_complex_numIfElPS3_EEvT1_S5_T2_lS5_lPKT0_lS6_lS5_l.num_named_barrier, 0
	.set _ZN9rocsolver6v33100L22larf_left_kernel_smallILi256E19rocblas_complex_numIfElPS3_EEvT1_S5_T2_lS5_lPKT0_lS6_lS5_l.private_seg_size, 0
	.set _ZN9rocsolver6v33100L22larf_left_kernel_smallILi256E19rocblas_complex_numIfElPS3_EEvT1_S5_T2_lS5_lPKT0_lS6_lS5_l.uses_vcc, 1
	.set _ZN9rocsolver6v33100L22larf_left_kernel_smallILi256E19rocblas_complex_numIfElPS3_EEvT1_S5_T2_lS5_lPKT0_lS6_lS5_l.uses_flat_scratch, 0
	.set _ZN9rocsolver6v33100L22larf_left_kernel_smallILi256E19rocblas_complex_numIfElPS3_EEvT1_S5_T2_lS5_lPKT0_lS6_lS5_l.has_dyn_sized_stack, 0
	.set _ZN9rocsolver6v33100L22larf_left_kernel_smallILi256E19rocblas_complex_numIfElPS3_EEvT1_S5_T2_lS5_lPKT0_lS6_lS5_l.has_recursion, 0
	.set _ZN9rocsolver6v33100L22larf_left_kernel_smallILi256E19rocblas_complex_numIfElPS3_EEvT1_S5_T2_lS5_lPKT0_lS6_lS5_l.has_indirect_call, 0
	.section	.AMDGPU.csdata,"",@progbits
; Kernel info:
; codeLenInByte = 1972
; TotalNumSgprs: 56
; NumVgprs: 54
; NumAgprs: 0
; TotalNumVgprs: 54
; ScratchSize: 0
; MemoryBound: 0
; FloatMode: 240
; IeeeMode: 1
; LDSByteSize: 18432 bytes/workgroup (compile time only)
; SGPRBlocks: 6
; VGPRBlocks: 6
; NumSGPRsForWavesPerEU: 56
; NumVGPRsForWavesPerEU: 54
; AccumOffset: 56
; Occupancy: 8
; WaveLimiterHint : 1
; COMPUTE_PGM_RSRC2:SCRATCH_EN: 0
; COMPUTE_PGM_RSRC2:USER_SGPR: 2
; COMPUTE_PGM_RSRC2:TRAP_HANDLER: 0
; COMPUTE_PGM_RSRC2:TGID_X_EN: 1
; COMPUTE_PGM_RSRC2:TGID_Y_EN: 1
; COMPUTE_PGM_RSRC2:TGID_Z_EN: 0
; COMPUTE_PGM_RSRC2:TIDIG_COMP_CNT: 0
; COMPUTE_PGM_RSRC3_GFX90A:ACCUM_OFFSET: 13
; COMPUTE_PGM_RSRC3_GFX90A:TG_SPLIT: 0
	.section	.text._ZN9rocsolver6v33100L22larf_left_kernel_smallILi512E19rocblas_complex_numIfElPS3_EEvT1_S5_T2_lS5_lPKT0_lS6_lS5_l,"axG",@progbits,_ZN9rocsolver6v33100L22larf_left_kernel_smallILi512E19rocblas_complex_numIfElPS3_EEvT1_S5_T2_lS5_lPKT0_lS6_lS5_l,comdat
	.globl	_ZN9rocsolver6v33100L22larf_left_kernel_smallILi512E19rocblas_complex_numIfElPS3_EEvT1_S5_T2_lS5_lPKT0_lS6_lS5_l ; -- Begin function _ZN9rocsolver6v33100L22larf_left_kernel_smallILi512E19rocblas_complex_numIfElPS3_EEvT1_S5_T2_lS5_lPKT0_lS6_lS5_l
	.p2align	8
	.type	_ZN9rocsolver6v33100L22larf_left_kernel_smallILi512E19rocblas_complex_numIfElPS3_EEvT1_S5_T2_lS5_lPKT0_lS6_lS5_l,@function
_ZN9rocsolver6v33100L22larf_left_kernel_smallILi512E19rocblas_complex_numIfElPS3_EEvT1_S5_T2_lS5_lPKT0_lS6_lS5_l: ; @_ZN9rocsolver6v33100L22larf_left_kernel_smallILi512E19rocblas_complex_numIfElPS3_EEvT1_S5_T2_lS5_lPKT0_lS6_lS5_l
; %bb.0:
	s_load_dwordx16 s[16:31], s[0:1], 0x0
	s_mov_b32 s14, s3
	s_mov_b64 s[6:7], 0
	s_waitcnt lgkmcnt(0)
	v_cmp_gt_i64_e64 s[4:5], s[24:25], 0
	s_and_b64 vcc, exec, s[4:5]
	s_cbranch_vccnz .LBB23_2
; %bb.1:
	s_sub_u32 s3, 1, s16
	s_subb_u32 s4, 0, s17
	s_mul_i32 s4, s24, s4
	s_mul_hi_u32 s5, s24, s3
	s_add_i32 s4, s5, s4
	s_mul_i32 s5, s25, s3
	s_add_i32 s7, s4, s5
	s_mul_i32 s6, s24, s3
.LBB23_2:
	v_mov_b32_e32 v1, 0
	v_cmp_gt_i64_e64 s[12:13], s[16:17], v[0:1]
	v_lshlrev_b32_e32 v38, 3, v0
	s_and_saveexec_b64 s[4:5], s[12:13]
	s_cbranch_execz .LBB23_5
; %bb.3:
	v_mad_u64_u32 v[2:3], s[10:11], s24, v0, 0
	s_mul_i32 s3, s27, s2
	s_mul_hi_u32 s8, s26, s2
	v_mov_b32_e32 v4, v3
	s_add_i32 s9, s8, s3
	s_mul_i32 s8, s26, s2
	v_mad_u64_u32 v[4:5], s[10:11], s25, v0, v[4:5]
	s_lshl_b64 s[8:9], s[8:9], 3
	s_lshl_b64 s[6:7], s[6:7], 3
	;; [unrolled: 1-line block ×3, first 2 shown]
	s_add_u32 s3, s20, s10
	s_addc_u32 s10, s21, s11
	s_add_u32 s3, s3, s6
	s_addc_u32 s7, s10, s7
	s_add_u32 s6, s3, s8
	v_mov_b32_e32 v3, v4
	s_addc_u32 s7, s7, s9
	v_lshl_add_u64 v[2:3], v[2:3], 3, s[6:7]
	s_lshl_b64 s[6:7], s[24:25], 12
	v_lshlrev_b32_e32 v6, 3, v0
	s_mov_b64 s[8:9], 0
	s_mov_b64 s[10:11], 0x200
	v_mov_b64_e32 v[4:5], v[0:1]
.LBB23_4:                               ; =>This Inner Loop Header: Depth=1
	global_load_dwordx2 v[8:9], v[2:3], off
	v_lshl_add_u64 v[4:5], v[4:5], 0, s[10:11]
	v_cmp_le_i64_e32 vcc, s[16:17], v[4:5]
	v_lshl_add_u64 v[2:3], v[2:3], 0, s[6:7]
	s_or_b64 s[8:9], vcc, s[8:9]
	s_waitcnt vmcnt(0)
	ds_write_b64 v6, v[8:9]
	v_add_u32_e32 v6, 0x1000, v6
	s_andn2_b64 exec, exec, s[8:9]
	s_cbranch_execnz .LBB23_4
.LBB23_5:
	s_or_b64 exec, exec, s[4:5]
	s_mov_b32 s15, 0
	v_mov_b64_e32 v[2:3], s[14:15]
	v_cmp_le_i64_e32 vcc, s[18:19], v[2:3]
	s_waitcnt lgkmcnt(0)
	s_barrier
	s_cbranch_vccnz .LBB23_34
; %bb.6:
	s_load_dwordx8 s[20:27], s[0:1], 0x40
	s_mul_i32 s0, s31, s2
	s_mul_hi_u32 s1, s30, s2
	s_add_i32 s1, s1, s0
	s_mul_i32 s0, s30, s2
	s_waitcnt lgkmcnt(0)
	s_mul_i32 s3, s27, s2
	s_mul_hi_u32 s4, s26, s2
	s_add_i32 s35, s4, s3
	s_lshl_b64 s[0:1], s[0:1], 3
	s_add_u32 s0, s28, s0
	s_addc_u32 s1, s29, s1
	s_cmp_gt_i32 s16, 1
	s_mul_i32 s8, s25, s14
	s_mul_hi_u32 s9, s24, s14
	s_mul_i32 s34, s26, s2
	s_cselect_b64 s[26:27], -1, 0
	s_add_i32 s31, s9, s8
	s_mul_i32 s30, s24, s14
	s_add_u32 s8, s34, s30
	s_addc_u32 s9, s35, s31
	s_add_u32 s8, s8, s22
	v_and_b32_e32 v2, 63, v0
	s_addc_u32 s9, s9, s23
	s_lshl_b64 s[24:25], s[24:25], 9
	s_lshl_b64 s[34:35], s[34:35], 3
	;; [unrolled: 1-line block ×3, first 2 shown]
	v_cmp_eq_u32_e64 s[4:5], 0, v2
	v_mov_b32_e32 v3, -1
	v_not_b32_e32 v2, v0
	s_add_u32 s30, s34, s30
	v_lshl_add_u64 v[2:3], s[16:17], 0, v[2:3]
	s_addc_u32 s31, s35, s31
	s_lshl_b64 s[22:23], s[22:23], 3
	v_lshrrev_b64 v[6:7], 9, v[2:3]
	s_add_u32 s22, s30, s22
	v_lshl_add_u64 v[4:5], s[8:9], 0, v[0:1]
	v_lshl_add_u64 v[6:7], v[6:7], 0, 1
	s_mov_b32 s10, -1
	s_addc_u32 s23, s31, s23
	v_lshl_add_u64 v[10:11], v[4:5], 3, s[20:21]
	s_brev_b32 s11, -8
	v_and_b32_e32 v14, -2, v6
	v_mov_b32_e32 v15, v7
	v_mov_b32_e32 v18, 0
	s_add_u32 s20, s20, s22
	s_mov_b64 s[8:9], 0x600
	v_cmp_lt_u64_e32 vcc, s[10:11], v[2:3]
	v_lshlrev_b64 v[16:17], 9, v[14:15]
	v_cmp_ne_u64_e64 s[10:11], v[6:7], v[14:15]
	v_lshlrev_b32_e32 v20, 3, v0
	v_mov_b32_e32 v21, v18
	s_addc_u32 s21, s21, s23
	v_mbcnt_lo_u32_b32 v6, -1, 0
	v_lshrrev_b32_e32 v8, 3, v0
	v_cmp_gt_u64_e64 s[28:29], s[8:9], v[2:3]
	s_mov_b64 s[8:9], 0x5ff
	v_lshlrev_b64 v[12:13], 3, v[2:3]
	v_or_b32_e32 v16, v16, v0
	v_lshl_add_u64 v[22:23], s[20:21], 0, v[20:21]
	s_mov_b64 s[22:23], 0x1004
	v_mbcnt_hi_u32_b32 v39, -1, v6
	v_mov_b32_e32 v6, 0x80
	v_cmp_gt_i32_e64 s[2:3], s16, v0
	v_cmp_eq_u32_e64 s[6:7], 0, v0
	v_cmp_lt_u64_e64 s[8:9], s[8:9], v[2:3]
	s_movk_i32 s33, 0xf000
	v_and_b32_e32 v12, 0xfffff000, v12
	v_or_b32_e32 v4, 0x200, v0
	v_mov_b32_e32 v2, v0
	v_mov_b32_e32 v3, v18
	;; [unrolled: 1-line block ×3, first 2 shown]
	v_lshl_add_u64 v[24:25], v[22:23], 0, s[22:23]
	s_mov_b64 s[22:23], 0
	s_mov_b64 s[30:31], 0x1000
	v_and_b32_e32 v40, 63, v39
	v_or_b32_e32 v41, 0x4000, v8
	v_mov_b32_e32 v42, 0x4008
	v_mov_b32_e32 v43, 0x4018
	;; [unrolled: 1-line block ×3, first 2 shown]
	s_mov_b64 s[34:35], 0x400
	s_mov_b64 s[36:37], 0x2000
	v_lshlrev_b64 v[26:27], 3, v[16:17]
	s_mov_b64 s[38:39], 0x200
	v_mov_b64_e32 v[28:29], s[18:19]
	v_lshl_or_b32 v45, v39, 2, v6
	s_xor_b64 s[18:19], vcc, -1
	s_branch .LBB23_8
.LBB23_7:                               ;   in Loop: Header=BB23_8 Depth=1
	s_or_b64 exec, exec, s[40:41]
	s_add_u32 s14, s14, 64
	s_addc_u32 s15, s15, 0
	s_add_u32 s22, s22, 1
	s_addc_u32 s23, s23, 0
	s_add_u32 s20, s20, s24
	v_cmp_ge_i64_e32 vcc, s[14:15], v[28:29]
	v_lshl_add_u64 v[22:23], v[22:23], 0, s[24:25]
	v_lshl_add_u64 v[24:25], v[24:25], 0, s[24:25]
	s_addc_u32 s21, s21, s25
	s_cbranch_vccnz .LBB23_34
.LBB23_8:                               ; =>This Loop Header: Depth=1
                                        ;     Child Loop BB23_10 Depth 2
                                        ;     Child Loop BB23_26 Depth 2
	;; [unrolled: 1-line block ×3, first 2 shown]
	v_mov_b32_e32 v19, v18
	v_mov_b64_e32 v[6:7], v[18:19]
	s_and_saveexec_b64 s[40:41], s[2:3]
	s_cbranch_execz .LBB23_12
; %bb.9:                                ;   in Loop: Header=BB23_8 Depth=1
	v_mov_b32_e32 v6, 0
	s_mov_b64 s[42:43], 0
	v_mov_b64_e32 v[8:9], v[22:23]
	v_mov_b32_e32 v19, v38
	v_mov_b32_e32 v30, v0
	;; [unrolled: 1-line block ×3, first 2 shown]
.LBB23_10:                              ;   Parent Loop BB23_8 Depth=1
                                        ; =>  This Inner Loop Header: Depth=2
	global_load_dwordx2 v[32:33], v[8:9], off
	ds_read_b64 v[34:35], v19
	v_add_u32_e32 v30, 0x200, v30
	v_cmp_le_i32_e32 vcc, s16, v30
	v_add_u32_e32 v19, 0x1000, v19
	v_lshl_add_u64 v[8:9], v[8:9], 0, s[30:31]
	s_waitcnt lgkmcnt(0)
	v_mov_b32_e32 v36, v35
	s_or_b64 s[42:43], vcc, s[42:43]
	s_waitcnt vmcnt(0)
	v_pk_mul_f32 v[46:47], v[32:33], v[34:35] op_sel_hi:[1,0]
	s_nop 0
	v_pk_fma_f32 v[36:37], v[32:33], v[36:37], v[46:47] op_sel:[1,0,0] op_sel_hi:[0,1,1]
	v_pk_fma_f32 v[32:33], v[32:33], v[34:35], v[46:47] op_sel:[1,1,0] op_sel_hi:[0,1,1] neg_lo:[0,0,1] neg_hi:[0,0,1]
	v_mov_b32_e32 v37, v33
	v_pk_add_f32 v[6:7], v[6:7], v[36:37]
	s_andn2_b64 exec, exec, s[42:43]
	s_cbranch_execnz .LBB23_10
; %bb.11:                               ;   in Loop: Header=BB23_8 Depth=1
	s_or_b64 exec, exec, s[42:43]
.LBB23_12:                              ;   in Loop: Header=BB23_8 Depth=1
	s_or_b64 exec, exec, s[40:41]
	s_and_b64 vcc, exec, s[26:27]
	s_cbranch_vccz .LBB23_19
; %bb.13:                               ;   in Loop: Header=BB23_8 Depth=1
	v_cmp_ne_u32_e32 vcc, 63, v40
	s_nop 1
	v_addc_co_u32_e32 v8, vcc, 0, v39, vcc
	v_lshlrev_b32_e32 v9, 2, v8
	ds_bpermute_b32 v8, v9, v6
	ds_bpermute_b32 v9, v9, v7
	v_cmp_gt_u32_e32 vcc, 62, v40
	s_waitcnt lgkmcnt(0)
	v_pk_add_f32 v[8:9], v[6:7], v[8:9]
	v_cndmask_b32_e64 v19, 0, 2, vcc
	v_add_lshl_u32 v19, v19, v39, 2
	ds_bpermute_b32 v30, v19, v8
	ds_bpermute_b32 v31, v19, v9
	v_cmp_gt_u32_e32 vcc, 60, v40
	s_waitcnt lgkmcnt(0)
	v_pk_add_f32 v[8:9], v[8:9], v[30:31]
	v_cndmask_b32_e64 v19, 0, 4, vcc
	v_add_lshl_u32 v19, v19, v39, 2
	;; [unrolled: 7-line block ×4, first 2 shown]
	ds_bpermute_b32 v30, v19, v8
	ds_bpermute_b32 v31, v19, v9
	s_waitcnt lgkmcnt(0)
	v_pk_add_f32 v[8:9], v[8:9], v[30:31]
	ds_bpermute_b32 v30, v45, v8
	ds_bpermute_b32 v31, v45, v9
	s_waitcnt lgkmcnt(0)
	v_pk_add_f32 v[8:9], v[8:9], v[30:31]
	s_and_saveexec_b64 s[40:41], s[4:5]
; %bb.14:                               ;   in Loop: Header=BB23_8 Depth=1
	ds_write2_b32 v41, v8, v9 offset1:1
; %bb.15:                               ;   in Loop: Header=BB23_8 Depth=1
	s_or_b64 exec, exec, s[40:41]
	s_mov_b64 s[42:43], 0
	s_mov_b64 s[40:41], 0
	s_waitcnt lgkmcnt(0)
	s_barrier
                                        ; implicit-def: $vgpr30_vgpr31
	s_and_saveexec_b64 s[44:45], s[6:7]
	s_xor_b64 s[44:45], exec, s[44:45]
	s_cbranch_execz .LBB23_17
; %bb.16:                               ;   in Loop: Header=BB23_8 Depth=1
	ds_read2_b64 v[30:33], v42 offset1:1
	ds_read2_b64 v[34:37], v43 offset1:1
	;; [unrolled: 1-line block ×3, first 2 shown]
	ds_read_b64 v[50:51], v18 offset:16440
	s_mov_b64 s[40:41], exec
	s_waitcnt lgkmcnt(3)
	v_pk_add_f32 v[8:9], v[8:9], v[30:31]
	s_nop 0
	v_pk_add_f32 v[8:9], v[8:9], v[32:33]
	s_waitcnt lgkmcnt(2)
	v_pk_add_f32 v[8:9], v[8:9], v[34:35]
	s_nop 0
	v_pk_add_f32 v[8:9], v[8:9], v[36:37]
	;; [unrolled: 4-line block ×3, first 2 shown]
	s_waitcnt lgkmcnt(0)
	v_pk_add_f32 v[30:31], v[8:9], v[50:51]
.LBB23_17:                              ;   in Loop: Header=BB23_8 Depth=1
	s_or_b64 exec, exec, s[44:45]
	s_and_b64 vcc, exec, s[42:43]
	s_cbranch_vccnz .LBB23_20
.LBB23_18:                              ;   in Loop: Header=BB23_8 Depth=1
	v_mov_b64_e32 v[6:7], v[30:31]
	s_and_saveexec_b64 s[42:43], s[40:41]
	s_cbranch_execnz .LBB23_21
	s_branch .LBB23_22
.LBB23_19:                              ;   in Loop: Header=BB23_8 Depth=1
	s_mov_b64 s[40:41], 0
                                        ; implicit-def: $vgpr30_vgpr31
	s_cbranch_execz .LBB23_18
.LBB23_20:                              ;   in Loop: Header=BB23_8 Depth=1
	s_andn2_b64 s[40:41], s[40:41], exec
	s_and_b64 s[42:43], s[6:7], exec
	s_or_b64 s[40:41], s[40:41], s[42:43]
	s_and_saveexec_b64 s[42:43], s[40:41]
.LBB23_21:                              ;   in Loop: Header=BB23_8 Depth=1
	ds_write_b64 v18, v[6:7] offset:16384
.LBB23_22:                              ;   in Loop: Header=BB23_8 Depth=1
	s_or_b64 exec, exec, s[42:43]
	s_waitcnt lgkmcnt(0)
	s_barrier
	s_and_saveexec_b64 s[40:41], s[12:13]
	s_cbranch_execz .LBB23_7
; %bb.23:                               ;   in Loop: Header=BB23_8 Depth=1
	global_load_dwordx2 v[8:9], v18, s[0:1]
	ds_read_b64 v[30:31], v18 offset:16384
	s_mov_b64 s[44:45], s[28:29]
	v_mov_b64_e32 v[6:7], v[0:1]
	s_waitcnt vmcnt(0) lgkmcnt(0)
	v_mul_f32_e32 v19, v9, v31
	v_mul_f32_e32 v9, v9, v30
	v_fma_f32 v30, v30, -v8, -v19
	v_fma_f32 v32, v8, v31, -v9
	v_mov_b64_e32 v[8:9], v[20:21]
	s_and_saveexec_b64 s[42:43], s[8:9]
	s_cbranch_execz .LBB23_31
; %bb.24:                               ;   in Loop: Header=BB23_8 Depth=1
	s_mul_i32 s44, s25, s22
	s_mul_i32 s45, s24, s23
	v_mov_b32_e32 v6, s22
	s_add_i32 s46, s45, s44
	v_mad_u64_u32 v[6:7], s[44:45], s24, v6, v[10:11]
	v_add_u32_e32 v7, s46, v7
	v_lshl_add_u64 v[8:9], v[6:7], 0, v[12:13]
	v_cmp_ge_u64_e32 vcc, v[8:9], v[6:7]
	s_mov_b64 s[46:47], -1
	s_and_b64 s[48:49], vcc, s[18:19]
	v_mov_b64_e32 v[6:7], v[0:1]
	v_mov_b64_e32 v[8:9], v[20:21]
	s_and_saveexec_b64 s[44:45], s[48:49]
	s_cbranch_execz .LBB23_30
; %bb.25:                               ;   in Loop: Header=BB23_8 Depth=1
	v_mov_b64_e32 v[8:9], v[4:5]
	v_mov_b32_e32 v31, v30
	v_mov_b32_e32 v33, v32
	s_mov_b64 s[46:47], 0
	v_mov_b64_e32 v[34:35], v[14:15]
	v_mov_b64_e32 v[36:37], v[24:25]
	;; [unrolled: 1-line block ×3, first 2 shown]
.LBB23_26:                              ;   Parent Loop BB23_8 Depth=1
                                        ; =>  This Inner Loop Header: Depth=2
	v_add_co_u32_e32 v46, vcc, s33, v36
	v_lshlrev_b32_e32 v19, 3, v6
	s_nop 0
	v_addc_co_u32_e32 v47, vcc, -1, v37, vcc
	global_load_dwordx2 v[48:49], v[46:47], off offset:-4
	global_load_dwordx2 v[50:51], v[36:37], off offset:-4
	v_lshlrev_b32_e32 v54, 3, v8
	ds_read_b64 v[52:53], v19
	ds_read_b64 v[54:55], v54
	v_lshl_add_u64 v[34:35], v[34:35], 0, -2
	v_cmp_eq_u64_e32 vcc, 0, v[34:35]
	v_lshl_add_u64 v[8:9], v[8:9], 0, s[34:35]
	s_waitcnt lgkmcnt(1)
	v_mov_b32_e32 v56, v52
	s_waitcnt lgkmcnt(0)
	v_mov_b32_e32 v57, v54
	v_mov_b32_e32 v54, v53
	v_pk_mul_f32 v[52:53], v[32:33], v[54:55]
	v_pk_mul_f32 v[54:55], v[30:31], v[54:55]
	v_pk_fma_f32 v[52:53], v[30:31], v[56:57], v[52:53] neg_lo:[0,0,1] neg_hi:[0,0,1]
	v_pk_fma_f32 v[54:55], v[32:33], v[56:57], v[54:55]
	v_lshl_add_u64 v[6:7], v[6:7], 0, s[34:35]
	s_or_b64 s[46:47], vcc, s[46:47]
	s_waitcnt vmcnt(1)
	v_mov_b32_e32 v56, v48
	s_waitcnt vmcnt(0)
	v_mov_b32_e32 v57, v50
	v_mov_b32_e32 v50, v49
	v_pk_add_f32 v[48:49], v[56:57], v[52:53]
	v_pk_add_f32 v[50:51], v[54:55], v[50:51]
	v_mov_b32_e32 v52, v48
	v_mov_b32_e32 v53, v50
	;; [unrolled: 1-line block ×3, first 2 shown]
	global_store_dwordx2 v[46:47], v[52:53], off offset:-4
	global_store_dwordx2 v[36:37], v[50:51], off offset:-4
	v_lshl_add_u64 v[36:37], v[36:37], 0, s[36:37]
	s_andn2_b64 exec, exec, s[46:47]
	s_cbranch_execnz .LBB23_26
; %bb.27:                               ;   in Loop: Header=BB23_8 Depth=1
	s_or_b64 exec, exec, s[46:47]
	s_mov_b64 s[46:47], 0
	s_and_saveexec_b64 s[48:49], s[10:11]
; %bb.28:                               ;   in Loop: Header=BB23_8 Depth=1
	s_mov_b64 s[46:47], exec
; %bb.29:                               ;   in Loop: Header=BB23_8 Depth=1
	s_or_b64 exec, exec, s[48:49]
	s_orn2_b64 s[46:47], s[46:47], exec
	v_mov_b64_e32 v[6:7], v[16:17]
	v_mov_b64_e32 v[8:9], v[26:27]
.LBB23_30:                              ;   in Loop: Header=BB23_8 Depth=1
	s_or_b64 exec, exec, s[44:45]
	s_andn2_b64 s[44:45], s[28:29], exec
	s_and_b64 s[46:47], s[46:47], exec
	s_or_b64 s[44:45], s[44:45], s[46:47]
.LBB23_31:                              ;   in Loop: Header=BB23_8 Depth=1
	s_or_b64 exec, exec, s[42:43]
	s_and_b64 exec, exec, s[44:45]
	s_cbranch_execz .LBB23_7
; %bb.32:                               ;   in Loop: Header=BB23_8 Depth=1
	v_mov_b32_e32 v33, v32
	v_mov_b32_e32 v31, v30
	v_lshlrev_b32_e32 v19, 3, v6
	v_lshl_add_u64 v[8:9], s[20:21], 0, v[8:9]
	s_mov_b64 s[42:43], 0
.LBB23_33:                              ;   Parent Loop BB23_8 Depth=1
                                        ; =>  This Inner Loop Header: Depth=2
	global_load_dwordx2 v[34:35], v[8:9], off
	ds_read_b64 v[36:37], v19
	v_lshl_add_u64 v[6:7], v[6:7], 0, s[38:39]
	v_cmp_le_i64_e32 vcc, s[16:17], v[6:7]
	v_add_u32_e32 v19, 0x1000, v19
	s_or_b64 s[42:43], vcc, s[42:43]
	s_waitcnt lgkmcnt(0)
	v_pk_mul_f32 v[46:47], v[32:33], v[36:37] op_sel:[0,1] op_sel_hi:[1,0]
	s_nop 0
	v_pk_fma_f32 v[48:49], v[30:31], v[36:37], v[46:47] neg_lo:[0,0,1] neg_hi:[0,0,1]
	v_pk_fma_f32 v[36:37], v[30:31], v[36:37], v[46:47]
	s_nop 0
	v_mov_b32_e32 v49, v37
	s_waitcnt vmcnt(0)
	v_pk_add_f32 v[34:35], v[34:35], v[48:49]
	global_store_dwordx2 v[8:9], v[34:35], off
	v_lshl_add_u64 v[8:9], v[8:9], 0, s[30:31]
	s_andn2_b64 exec, exec, s[42:43]
	s_cbranch_execnz .LBB23_33
	s_branch .LBB23_7
.LBB23_34:
	s_endpgm
	.section	.rodata,"a",@progbits
	.p2align	6, 0x0
	.amdhsa_kernel _ZN9rocsolver6v33100L22larf_left_kernel_smallILi512E19rocblas_complex_numIfElPS3_EEvT1_S5_T2_lS5_lPKT0_lS6_lS5_l
		.amdhsa_group_segment_fixed_size 20480
		.amdhsa_private_segment_fixed_size 0
		.amdhsa_kernarg_size 96
		.amdhsa_user_sgpr_count 2
		.amdhsa_user_sgpr_dispatch_ptr 0
		.amdhsa_user_sgpr_queue_ptr 0
		.amdhsa_user_sgpr_kernarg_segment_ptr 1
		.amdhsa_user_sgpr_dispatch_id 0
		.amdhsa_user_sgpr_kernarg_preload_length 0
		.amdhsa_user_sgpr_kernarg_preload_offset 0
		.amdhsa_user_sgpr_private_segment_size 0
		.amdhsa_uses_dynamic_stack 0
		.amdhsa_enable_private_segment 0
		.amdhsa_system_sgpr_workgroup_id_x 1
		.amdhsa_system_sgpr_workgroup_id_y 1
		.amdhsa_system_sgpr_workgroup_id_z 0
		.amdhsa_system_sgpr_workgroup_info 0
		.amdhsa_system_vgpr_workitem_id 0
		.amdhsa_next_free_vgpr 58
		.amdhsa_next_free_sgpr 50
		.amdhsa_accum_offset 60
		.amdhsa_reserve_vcc 1
		.amdhsa_float_round_mode_32 0
		.amdhsa_float_round_mode_16_64 0
		.amdhsa_float_denorm_mode_32 3
		.amdhsa_float_denorm_mode_16_64 3
		.amdhsa_dx10_clamp 1
		.amdhsa_ieee_mode 1
		.amdhsa_fp16_overflow 0
		.amdhsa_tg_split 0
		.amdhsa_exception_fp_ieee_invalid_op 0
		.amdhsa_exception_fp_denorm_src 0
		.amdhsa_exception_fp_ieee_div_zero 0
		.amdhsa_exception_fp_ieee_overflow 0
		.amdhsa_exception_fp_ieee_underflow 0
		.amdhsa_exception_fp_ieee_inexact 0
		.amdhsa_exception_int_div_zero 0
	.end_amdhsa_kernel
	.section	.text._ZN9rocsolver6v33100L22larf_left_kernel_smallILi512E19rocblas_complex_numIfElPS3_EEvT1_S5_T2_lS5_lPKT0_lS6_lS5_l,"axG",@progbits,_ZN9rocsolver6v33100L22larf_left_kernel_smallILi512E19rocblas_complex_numIfElPS3_EEvT1_S5_T2_lS5_lPKT0_lS6_lS5_l,comdat
.Lfunc_end23:
	.size	_ZN9rocsolver6v33100L22larf_left_kernel_smallILi512E19rocblas_complex_numIfElPS3_EEvT1_S5_T2_lS5_lPKT0_lS6_lS5_l, .Lfunc_end23-_ZN9rocsolver6v33100L22larf_left_kernel_smallILi512E19rocblas_complex_numIfElPS3_EEvT1_S5_T2_lS5_lPKT0_lS6_lS5_l
                                        ; -- End function
	.set _ZN9rocsolver6v33100L22larf_left_kernel_smallILi512E19rocblas_complex_numIfElPS3_EEvT1_S5_T2_lS5_lPKT0_lS6_lS5_l.num_vgpr, 58
	.set _ZN9rocsolver6v33100L22larf_left_kernel_smallILi512E19rocblas_complex_numIfElPS3_EEvT1_S5_T2_lS5_lPKT0_lS6_lS5_l.num_agpr, 0
	.set _ZN9rocsolver6v33100L22larf_left_kernel_smallILi512E19rocblas_complex_numIfElPS3_EEvT1_S5_T2_lS5_lPKT0_lS6_lS5_l.numbered_sgpr, 50
	.set _ZN9rocsolver6v33100L22larf_left_kernel_smallILi512E19rocblas_complex_numIfElPS3_EEvT1_S5_T2_lS5_lPKT0_lS6_lS5_l.num_named_barrier, 0
	.set _ZN9rocsolver6v33100L22larf_left_kernel_smallILi512E19rocblas_complex_numIfElPS3_EEvT1_S5_T2_lS5_lPKT0_lS6_lS5_l.private_seg_size, 0
	.set _ZN9rocsolver6v33100L22larf_left_kernel_smallILi512E19rocblas_complex_numIfElPS3_EEvT1_S5_T2_lS5_lPKT0_lS6_lS5_l.uses_vcc, 1
	.set _ZN9rocsolver6v33100L22larf_left_kernel_smallILi512E19rocblas_complex_numIfElPS3_EEvT1_S5_T2_lS5_lPKT0_lS6_lS5_l.uses_flat_scratch, 0
	.set _ZN9rocsolver6v33100L22larf_left_kernel_smallILi512E19rocblas_complex_numIfElPS3_EEvT1_S5_T2_lS5_lPKT0_lS6_lS5_l.has_dyn_sized_stack, 0
	.set _ZN9rocsolver6v33100L22larf_left_kernel_smallILi512E19rocblas_complex_numIfElPS3_EEvT1_S5_T2_lS5_lPKT0_lS6_lS5_l.has_recursion, 0
	.set _ZN9rocsolver6v33100L22larf_left_kernel_smallILi512E19rocblas_complex_numIfElPS3_EEvT1_S5_T2_lS5_lPKT0_lS6_lS5_l.has_indirect_call, 0
	.section	.AMDGPU.csdata,"",@progbits
; Kernel info:
; codeLenInByte = 2080
; TotalNumSgprs: 56
; NumVgprs: 58
; NumAgprs: 0
; TotalNumVgprs: 58
; ScratchSize: 0
; MemoryBound: 0
; FloatMode: 240
; IeeeMode: 1
; LDSByteSize: 20480 bytes/workgroup (compile time only)
; SGPRBlocks: 6
; VGPRBlocks: 7
; NumSGPRsForWavesPerEU: 56
; NumVGPRsForWavesPerEU: 58
; AccumOffset: 60
; Occupancy: 8
; WaveLimiterHint : 1
; COMPUTE_PGM_RSRC2:SCRATCH_EN: 0
; COMPUTE_PGM_RSRC2:USER_SGPR: 2
; COMPUTE_PGM_RSRC2:TRAP_HANDLER: 0
; COMPUTE_PGM_RSRC2:TGID_X_EN: 1
; COMPUTE_PGM_RSRC2:TGID_Y_EN: 1
; COMPUTE_PGM_RSRC2:TGID_Z_EN: 0
; COMPUTE_PGM_RSRC2:TIDIG_COMP_CNT: 0
; COMPUTE_PGM_RSRC3_GFX90A:ACCUM_OFFSET: 14
; COMPUTE_PGM_RSRC3_GFX90A:TG_SPLIT: 0
	.section	.text._ZN9rocsolver6v33100L22larf_left_kernel_smallILi1024E19rocblas_complex_numIfElPS3_EEvT1_S5_T2_lS5_lPKT0_lS6_lS5_l,"axG",@progbits,_ZN9rocsolver6v33100L22larf_left_kernel_smallILi1024E19rocblas_complex_numIfElPS3_EEvT1_S5_T2_lS5_lPKT0_lS6_lS5_l,comdat
	.globl	_ZN9rocsolver6v33100L22larf_left_kernel_smallILi1024E19rocblas_complex_numIfElPS3_EEvT1_S5_T2_lS5_lPKT0_lS6_lS5_l ; -- Begin function _ZN9rocsolver6v33100L22larf_left_kernel_smallILi1024E19rocblas_complex_numIfElPS3_EEvT1_S5_T2_lS5_lPKT0_lS6_lS5_l
	.p2align	8
	.type	_ZN9rocsolver6v33100L22larf_left_kernel_smallILi1024E19rocblas_complex_numIfElPS3_EEvT1_S5_T2_lS5_lPKT0_lS6_lS5_l,@function
_ZN9rocsolver6v33100L22larf_left_kernel_smallILi1024E19rocblas_complex_numIfElPS3_EEvT1_S5_T2_lS5_lPKT0_lS6_lS5_l: ; @_ZN9rocsolver6v33100L22larf_left_kernel_smallILi1024E19rocblas_complex_numIfElPS3_EEvT1_S5_T2_lS5_lPKT0_lS6_lS5_l
; %bb.0:
	s_load_dwordx16 s[16:31], s[0:1], 0x0
	s_mov_b32 s14, s3
	s_mov_b64 s[6:7], 0
	s_waitcnt lgkmcnt(0)
	v_cmp_gt_i64_e64 s[4:5], s[24:25], 0
	s_and_b64 vcc, exec, s[4:5]
	s_cbranch_vccnz .LBB24_2
; %bb.1:
	s_sub_u32 s3, 1, s16
	s_subb_u32 s4, 0, s17
	s_mul_i32 s4, s24, s4
	s_mul_hi_u32 s5, s24, s3
	s_add_i32 s4, s5, s4
	s_mul_i32 s5, s25, s3
	s_add_i32 s7, s4, s5
	s_mul_i32 s6, s24, s3
.LBB24_2:
	v_mov_b32_e32 v1, 0
	v_cmp_gt_i64_e64 s[12:13], s[16:17], v[0:1]
	v_lshlrev_b32_e32 v32, 3, v0
	s_and_saveexec_b64 s[4:5], s[12:13]
	s_cbranch_execz .LBB24_5
; %bb.3:
	v_mad_u64_u32 v[2:3], s[10:11], s24, v0, 0
	s_mul_i32 s3, s27, s2
	s_mul_hi_u32 s8, s26, s2
	v_mov_b32_e32 v4, v3
	s_add_i32 s9, s8, s3
	s_mul_i32 s8, s26, s2
	v_mad_u64_u32 v[4:5], s[10:11], s25, v0, v[4:5]
	s_lshl_b64 s[8:9], s[8:9], 3
	s_lshl_b64 s[6:7], s[6:7], 3
	;; [unrolled: 1-line block ×3, first 2 shown]
	s_add_u32 s3, s20, s10
	s_addc_u32 s10, s21, s11
	s_add_u32 s3, s3, s6
	s_addc_u32 s7, s10, s7
	s_add_u32 s6, s3, s8
	v_mov_b32_e32 v3, v4
	s_addc_u32 s7, s7, s9
	v_lshl_add_u64 v[2:3], v[2:3], 3, s[6:7]
	s_lshl_b64 s[6:7], s[24:25], 13
	v_lshlrev_b32_e32 v6, 3, v0
	s_mov_b64 s[8:9], 0
	s_mov_b64 s[10:11], 0x400
	v_mov_b64_e32 v[4:5], v[0:1]
.LBB24_4:                               ; =>This Inner Loop Header: Depth=1
	global_load_dwordx2 v[8:9], v[2:3], off
	v_lshl_add_u64 v[4:5], v[4:5], 0, s[10:11]
	v_cmp_le_i64_e32 vcc, s[16:17], v[4:5]
	v_lshl_add_u64 v[2:3], v[2:3], 0, s[6:7]
	s_or_b64 s[8:9], vcc, s[8:9]
	s_waitcnt vmcnt(0)
	ds_write_b64 v6, v[8:9]
	v_add_u32_e32 v6, 0x2000, v6
	s_andn2_b64 exec, exec, s[8:9]
	s_cbranch_execnz .LBB24_4
.LBB24_5:
	s_or_b64 exec, exec, s[4:5]
	s_mov_b32 s15, 0
	v_mov_b64_e32 v[2:3], s[14:15]
	v_cmp_le_i64_e32 vcc, s[18:19], v[2:3]
	s_waitcnt lgkmcnt(0)
	s_barrier
	s_cbranch_vccnz .LBB24_34
; %bb.6:
	s_load_dwordx8 s[20:27], s[0:1], 0x40
	s_mul_i32 s0, s31, s2
	s_mul_hi_u32 s1, s30, s2
	s_add_i32 s1, s1, s0
	s_mul_i32 s0, s30, s2
	s_waitcnt lgkmcnt(0)
	s_mul_i32 s3, s27, s2
	s_mul_hi_u32 s4, s26, s2
	s_add_i32 s35, s4, s3
	s_lshl_b64 s[0:1], s[0:1], 3
	s_add_u32 s0, s28, s0
	s_addc_u32 s1, s29, s1
	s_cmp_gt_i32 s16, 1
	s_mul_i32 s8, s25, s14
	s_mul_hi_u32 s9, s24, s14
	s_mul_i32 s34, s26, s2
	s_cselect_b64 s[26:27], -1, 0
	s_add_i32 s31, s9, s8
	s_mul_i32 s30, s24, s14
	s_add_u32 s8, s34, s30
	s_addc_u32 s9, s35, s31
	s_add_u32 s8, s8, s22
	s_addc_u32 s9, s9, s23
	s_lshl_b64 s[24:25], s[24:25], 9
	s_lshl_b64 s[34:35], s[34:35], 3
	s_lshl_b64 s[30:31], s[30:31], 3
	v_and_b32_e32 v2, 63, v0
	s_add_u32 s30, s34, s30
	v_cmp_eq_u32_e64 s[4:5], 0, v2
	v_mov_b32_e32 v3, -1
	v_not_b32_e32 v2, v0
	s_addc_u32 s31, s35, s31
	s_lshl_b64 s[22:23], s[22:23], 3
	v_lshl_add_u64 v[2:3], s[16:17], 0, v[2:3]
	s_add_u32 s22, s30, s22
	v_lshl_add_u64 v[4:5], s[8:9], 0, v[0:1]
	v_lshrrev_b64 v[6:7], 10, v[2:3]
	s_addc_u32 s23, s31, s23
	v_lshl_add_u64 v[6:7], v[6:7], 0, 1
	v_lshl_add_u64 v[8:9], v[4:5], 3, s[20:21]
	s_mov_b32 s10, -1
	v_mov_b32_e32 v18, 0
	s_add_u32 s20, s20, s22
	s_mov_b64 s[8:9], 0xc00
	s_brev_b32 s11, -8
	v_and_b32_e32 v12, -2, v6
	v_mov_b32_e32 v13, v7
	v_lshlrev_b32_e32 v16, 3, v0
	v_mov_b32_e32 v17, v18
	s_addc_u32 s21, s21, s23
	v_mbcnt_lo_u32_b32 v4, -1, 0
	v_lshrrev_b32_e32 v19, 3, v0
	v_cmp_gt_u64_e64 s[28:29], s[8:9], v[2:3]
	s_mov_b64 s[8:9], 0xbff
	v_lshlrev_b64 v[10:11], 3, v[2:3]
	v_cmp_lt_u64_e32 vcc, s[10:11], v[2:3]
	v_lshlrev_b64 v[14:15], 10, v[12:13]
	v_lshl_add_u64 v[20:21], s[20:21], 0, v[16:17]
	s_mov_b64 s[22:23], 0x2004
	v_mbcnt_hi_u32_b32 v33, -1, v4
	v_mov_b32_e32 v4, 0x80
	v_cmp_gt_i32_e64 s[2:3], s16, v0
	v_cmp_eq_u32_e64 s[6:7], 0, v0
	v_cmp_lt_u64_e64 s[8:9], s[8:9], v[2:3]
	s_movk_i32 s33, 0xe000
	v_and_b32_e32 v10, 0xffffe000, v10
	v_or_b32_e32 v14, v14, v0
	v_or_b32_e32 v2, 0x400, v0
	v_mov_b32_e32 v3, v1
	v_cmp_ne_u64_e64 s[10:11], v[6:7], v[12:13]
	v_lshl_add_u64 v[22:23], v[20:21], 0, s[22:23]
	s_mov_b64 s[22:23], 0
	s_mov_b64 s[30:31], 0x2000
	v_and_b32_e32 v34, 63, v33
	v_or_b32_e32 v35, 0x4000, v19
	v_mov_b32_e32 v36, 0x4008
	v_mov_b32_e32 v37, 0x4018
	;; [unrolled: 1-line block ×7, first 2 shown]
	s_mov_b64 s[34:35], 0x800
	s_mov_b64 s[36:37], 0x4000
	;; [unrolled: 1-line block ×3, first 2 shown]
	v_lshl_or_b32 v43, v33, 2, v4
	s_xor_b64 s[40:41], vcc, -1
	s_branch .LBB24_8
.LBB24_7:                               ;   in Loop: Header=BB24_8 Depth=1
	s_or_b64 exec, exec, s[42:43]
	s_add_u32 s14, s14, 64
	s_addc_u32 s15, s15, 0
	s_add_u32 s22, s22, 1
	s_addc_u32 s23, s23, 0
	v_mov_b64_e32 v[4:5], s[18:19]
	s_add_u32 s20, s20, s24
	v_cmp_ge_i64_e32 vcc, s[14:15], v[4:5]
	v_lshl_add_u64 v[20:21], v[20:21], 0, s[24:25]
	v_lshl_add_u64 v[22:23], v[22:23], 0, s[24:25]
	s_addc_u32 s21, s21, s25
	s_cbranch_vccnz .LBB24_34
.LBB24_8:                               ; =>This Loop Header: Depth=1
                                        ;     Child Loop BB24_10 Depth 2
                                        ;     Child Loop BB24_26 Depth 2
	;; [unrolled: 1-line block ×3, first 2 shown]
	v_mov_b32_e32 v19, v18
	v_mov_b64_e32 v[4:5], v[18:19]
	s_and_saveexec_b64 s[42:43], s[2:3]
	s_cbranch_execz .LBB24_12
; %bb.9:                                ;   in Loop: Header=BB24_8 Depth=1
	v_mov_b32_e32 v4, 0
	s_mov_b64 s[44:45], 0
	v_mov_b64_e32 v[6:7], v[20:21]
	v_mov_b32_e32 v19, v32
	v_mov_b32_e32 v24, v0
	;; [unrolled: 1-line block ×3, first 2 shown]
.LBB24_10:                              ;   Parent Loop BB24_8 Depth=1
                                        ; =>  This Inner Loop Header: Depth=2
	global_load_dwordx2 v[26:27], v[6:7], off
	ds_read_b64 v[28:29], v19
	v_add_u32_e32 v24, 0x400, v24
	v_cmp_le_i32_e32 vcc, s16, v24
	v_add_u32_e32 v19, 0x2000, v19
	v_lshl_add_u64 v[6:7], v[6:7], 0, s[30:31]
	s_waitcnt lgkmcnt(0)
	v_mov_b32_e32 v30, v29
	s_or_b64 s[44:45], vcc, s[44:45]
	s_waitcnt vmcnt(0)
	v_pk_mul_f32 v[44:45], v[26:27], v[28:29] op_sel_hi:[1,0]
	s_nop 0
	v_pk_fma_f32 v[30:31], v[26:27], v[30:31], v[44:45] op_sel:[1,0,0] op_sel_hi:[0,1,1]
	v_pk_fma_f32 v[26:27], v[26:27], v[28:29], v[44:45] op_sel:[1,1,0] op_sel_hi:[0,1,1] neg_lo:[0,0,1] neg_hi:[0,0,1]
	v_mov_b32_e32 v31, v27
	v_pk_add_f32 v[4:5], v[4:5], v[30:31]
	s_andn2_b64 exec, exec, s[44:45]
	s_cbranch_execnz .LBB24_10
; %bb.11:                               ;   in Loop: Header=BB24_8 Depth=1
	s_or_b64 exec, exec, s[44:45]
.LBB24_12:                              ;   in Loop: Header=BB24_8 Depth=1
	s_or_b64 exec, exec, s[42:43]
	s_and_b64 vcc, exec, s[26:27]
	s_cbranch_vccz .LBB24_19
; %bb.13:                               ;   in Loop: Header=BB24_8 Depth=1
	v_cmp_ne_u32_e32 vcc, 63, v34
	s_nop 1
	v_addc_co_u32_e32 v6, vcc, 0, v33, vcc
	v_lshlrev_b32_e32 v7, 2, v6
	ds_bpermute_b32 v6, v7, v4
	ds_bpermute_b32 v7, v7, v5
	v_cmp_gt_u32_e32 vcc, 62, v34
	s_waitcnt lgkmcnt(0)
	v_pk_add_f32 v[6:7], v[4:5], v[6:7]
	v_cndmask_b32_e64 v19, 0, 2, vcc
	v_add_lshl_u32 v19, v19, v33, 2
	ds_bpermute_b32 v24, v19, v6
	ds_bpermute_b32 v25, v19, v7
	v_cmp_gt_u32_e32 vcc, 60, v34
	s_waitcnt lgkmcnt(0)
	v_pk_add_f32 v[6:7], v[6:7], v[24:25]
	v_cndmask_b32_e64 v19, 0, 4, vcc
	v_add_lshl_u32 v19, v19, v33, 2
	ds_bpermute_b32 v24, v19, v6
	ds_bpermute_b32 v25, v19, v7
	v_cmp_gt_u32_e32 vcc, 56, v34
	s_waitcnt lgkmcnt(0)
	v_pk_add_f32 v[6:7], v[6:7], v[24:25]
	v_cndmask_b32_e64 v19, 0, 8, vcc
	v_add_lshl_u32 v19, v19, v33, 2
	ds_bpermute_b32 v24, v19, v6
	ds_bpermute_b32 v25, v19, v7
	v_cmp_gt_u32_e32 vcc, 48, v34
	s_waitcnt lgkmcnt(0)
	v_pk_add_f32 v[6:7], v[6:7], v[24:25]
	v_cndmask_b32_e64 v19, 0, 16, vcc
	v_add_lshl_u32 v19, v19, v33, 2
	ds_bpermute_b32 v24, v19, v6
	ds_bpermute_b32 v25, v19, v7
	s_waitcnt lgkmcnt(0)
	v_pk_add_f32 v[6:7], v[6:7], v[24:25]
	ds_bpermute_b32 v24, v43, v6
	ds_bpermute_b32 v25, v43, v7
	s_waitcnt lgkmcnt(0)
	v_pk_add_f32 v[6:7], v[6:7], v[24:25]
	s_and_saveexec_b64 s[42:43], s[4:5]
; %bb.14:                               ;   in Loop: Header=BB24_8 Depth=1
	ds_write2_b32 v35, v6, v7 offset1:1
; %bb.15:                               ;   in Loop: Header=BB24_8 Depth=1
	s_or_b64 exec, exec, s[42:43]
	s_mov_b64 s[44:45], 0
	s_mov_b64 s[42:43], 0
	s_waitcnt lgkmcnt(0)
	s_barrier
                                        ; implicit-def: $vgpr24_vgpr25
	s_and_saveexec_b64 s[46:47], s[6:7]
	s_xor_b64 s[46:47], exec, s[46:47]
	s_cbranch_execz .LBB24_17
; %bb.16:                               ;   in Loop: Header=BB24_8 Depth=1
	ds_read2_b64 v[24:27], v36 offset1:1
	ds_read2_b64 v[28:31], v37 offset1:1
	;; [unrolled: 1-line block ×3, first 2 shown]
	ds_read_b64 v[48:49], v18 offset:16504
	s_mov_b64 s[42:43], exec
	s_waitcnt lgkmcnt(3)
	v_pk_add_f32 v[6:7], v[6:7], v[24:25]
	s_nop 0
	v_pk_add_f32 v[6:7], v[6:7], v[26:27]
	ds_read2_b64 v[24:27], v39 offset1:1
	s_waitcnt lgkmcnt(3)
	v_pk_add_f32 v[6:7], v[6:7], v[28:29]
	s_nop 0
	v_pk_add_f32 v[6:7], v[6:7], v[30:31]
	ds_read2_b64 v[28:31], v40 offset1:1
	;; [unrolled: 5-line block ×4, first 2 shown]
	s_waitcnt lgkmcnt(2)
	v_pk_add_f32 v[6:7], v[6:7], v[28:29]
	s_nop 0
	v_pk_add_f32 v[6:7], v[6:7], v[30:31]
	s_waitcnt lgkmcnt(1)
	v_pk_add_f32 v[6:7], v[6:7], v[44:45]
	s_nop 0
	v_pk_add_f32 v[6:7], v[6:7], v[46:47]
	;; [unrolled: 4-line block ×3, first 2 shown]
	s_nop 0
	v_pk_add_f32 v[24:25], v[6:7], v[48:49]
.LBB24_17:                              ;   in Loop: Header=BB24_8 Depth=1
	s_or_b64 exec, exec, s[46:47]
	s_and_b64 vcc, exec, s[44:45]
	s_cbranch_vccnz .LBB24_20
.LBB24_18:                              ;   in Loop: Header=BB24_8 Depth=1
	v_mov_b64_e32 v[4:5], v[24:25]
	s_and_saveexec_b64 s[44:45], s[42:43]
	s_cbranch_execnz .LBB24_21
	s_branch .LBB24_22
.LBB24_19:                              ;   in Loop: Header=BB24_8 Depth=1
	s_mov_b64 s[42:43], 0
                                        ; implicit-def: $vgpr24_vgpr25
	s_cbranch_execz .LBB24_18
.LBB24_20:                              ;   in Loop: Header=BB24_8 Depth=1
	s_andn2_b64 s[42:43], s[42:43], exec
	s_and_b64 s[44:45], s[6:7], exec
	s_or_b64 s[42:43], s[42:43], s[44:45]
	s_and_saveexec_b64 s[44:45], s[42:43]
.LBB24_21:                              ;   in Loop: Header=BB24_8 Depth=1
	ds_write_b64 v18, v[4:5] offset:16384
.LBB24_22:                              ;   in Loop: Header=BB24_8 Depth=1
	s_or_b64 exec, exec, s[44:45]
	s_waitcnt lgkmcnt(0)
	s_barrier
	s_and_saveexec_b64 s[42:43], s[12:13]
	s_cbranch_execz .LBB24_7
; %bb.23:                               ;   in Loop: Header=BB24_8 Depth=1
	global_load_dwordx2 v[6:7], v18, s[0:1]
	ds_read_b64 v[24:25], v18 offset:16384
	s_mov_b64 s[46:47], s[28:29]
	v_mov_b64_e32 v[4:5], v[0:1]
	s_waitcnt vmcnt(0) lgkmcnt(0)
	v_mul_f32_e32 v19, v7, v25
	v_mul_f32_e32 v7, v7, v24
	v_fma_f32 v24, v24, -v6, -v19
	v_fma_f32 v26, v6, v25, -v7
	v_mov_b64_e32 v[6:7], v[16:17]
	s_and_saveexec_b64 s[44:45], s[8:9]
	s_cbranch_execz .LBB24_31
; %bb.24:                               ;   in Loop: Header=BB24_8 Depth=1
	s_mul_i32 s46, s25, s22
	s_mul_i32 s47, s24, s23
	v_mov_b32_e32 v4, s22
	s_add_i32 s48, s47, s46
	v_mad_u64_u32 v[4:5], s[46:47], s24, v4, v[8:9]
	v_add_u32_e32 v5, s48, v5
	v_lshl_add_u64 v[6:7], v[4:5], 0, v[10:11]
	v_cmp_ge_u64_e32 vcc, v[6:7], v[4:5]
	s_mov_b64 s[48:49], -1
	s_and_b64 s[50:51], vcc, s[40:41]
	v_mov_b64_e32 v[4:5], v[0:1]
	v_mov_b64_e32 v[6:7], v[16:17]
	s_and_saveexec_b64 s[46:47], s[50:51]
	s_cbranch_execz .LBB24_30
; %bb.25:                               ;   in Loop: Header=BB24_8 Depth=1
	v_mov_b64_e32 v[6:7], v[2:3]
	v_mov_b32_e32 v25, v24
	v_mov_b32_e32 v27, v26
	s_mov_b64 s[48:49], 0
	v_mov_b64_e32 v[28:29], v[12:13]
	v_mov_b64_e32 v[30:31], v[22:23]
	;; [unrolled: 1-line block ×3, first 2 shown]
.LBB24_26:                              ;   Parent Loop BB24_8 Depth=1
                                        ; =>  This Inner Loop Header: Depth=2
	v_add_co_u32_e32 v44, vcc, s33, v30
	v_lshlrev_b32_e32 v19, 3, v4
	s_nop 0
	v_addc_co_u32_e32 v45, vcc, -1, v31, vcc
	global_load_dwordx2 v[46:47], v[44:45], off offset:-4
	global_load_dwordx2 v[48:49], v[30:31], off offset:-4
	v_lshlrev_b32_e32 v52, 3, v6
	ds_read_b64 v[50:51], v19
	ds_read_b64 v[52:53], v52
	v_lshl_add_u64 v[28:29], v[28:29], 0, -2
	v_cmp_eq_u64_e32 vcc, 0, v[28:29]
	v_lshl_add_u64 v[6:7], v[6:7], 0, s[34:35]
	s_waitcnt lgkmcnt(1)
	v_mov_b32_e32 v54, v50
	s_waitcnt lgkmcnt(0)
	v_mov_b32_e32 v55, v52
	v_mov_b32_e32 v52, v51
	v_pk_mul_f32 v[50:51], v[26:27], v[52:53]
	v_pk_mul_f32 v[52:53], v[24:25], v[52:53]
	v_pk_fma_f32 v[50:51], v[24:25], v[54:55], v[50:51] neg_lo:[0,0,1] neg_hi:[0,0,1]
	v_pk_fma_f32 v[52:53], v[26:27], v[54:55], v[52:53]
	v_lshl_add_u64 v[4:5], v[4:5], 0, s[34:35]
	s_or_b64 s[48:49], vcc, s[48:49]
	s_waitcnt vmcnt(1)
	v_mov_b32_e32 v54, v46
	s_waitcnt vmcnt(0)
	v_mov_b32_e32 v55, v48
	v_mov_b32_e32 v48, v47
	v_pk_add_f32 v[46:47], v[54:55], v[50:51]
	v_pk_add_f32 v[48:49], v[52:53], v[48:49]
	v_mov_b32_e32 v50, v46
	v_mov_b32_e32 v51, v48
	;; [unrolled: 1-line block ×3, first 2 shown]
	global_store_dwordx2 v[44:45], v[50:51], off offset:-4
	global_store_dwordx2 v[30:31], v[48:49], off offset:-4
	v_lshl_add_u64 v[30:31], v[30:31], 0, s[36:37]
	s_andn2_b64 exec, exec, s[48:49]
	s_cbranch_execnz .LBB24_26
; %bb.27:                               ;   in Loop: Header=BB24_8 Depth=1
	s_or_b64 exec, exec, s[48:49]
	s_mov_b64 s[48:49], 0
                                        ; implicit-def: $vgpr6_vgpr7
	s_and_saveexec_b64 s[50:51], s[10:11]
; %bb.28:                               ;   in Loop: Header=BB24_8 Depth=1
	s_mov_b64 s[48:49], exec
	v_lshlrev_b64 v[6:7], 3, v[14:15]
; %bb.29:                               ;   in Loop: Header=BB24_8 Depth=1
	s_or_b64 exec, exec, s[50:51]
	s_orn2_b64 s[48:49], s[48:49], exec
	v_mov_b64_e32 v[4:5], v[14:15]
.LBB24_30:                              ;   in Loop: Header=BB24_8 Depth=1
	s_or_b64 exec, exec, s[46:47]
	s_andn2_b64 s[46:47], s[28:29], exec
	s_and_b64 s[48:49], s[48:49], exec
	s_or_b64 s[46:47], s[46:47], s[48:49]
.LBB24_31:                              ;   in Loop: Header=BB24_8 Depth=1
	s_or_b64 exec, exec, s[44:45]
	s_and_b64 exec, exec, s[46:47]
	s_cbranch_execz .LBB24_7
; %bb.32:                               ;   in Loop: Header=BB24_8 Depth=1
	v_mov_b32_e32 v27, v26
	v_mov_b32_e32 v25, v24
	v_lshlrev_b32_e32 v19, 3, v4
	v_lshl_add_u64 v[6:7], s[20:21], 0, v[6:7]
	s_mov_b64 s[44:45], 0
.LBB24_33:                              ;   Parent Loop BB24_8 Depth=1
                                        ; =>  This Inner Loop Header: Depth=2
	global_load_dwordx2 v[28:29], v[6:7], off
	ds_read_b64 v[30:31], v19
	v_lshl_add_u64 v[4:5], v[4:5], 0, s[38:39]
	v_cmp_le_i64_e32 vcc, s[16:17], v[4:5]
	v_add_u32_e32 v19, 0x2000, v19
	s_or_b64 s[44:45], vcc, s[44:45]
	s_waitcnt lgkmcnt(0)
	v_pk_mul_f32 v[44:45], v[26:27], v[30:31] op_sel:[0,1] op_sel_hi:[1,0]
	s_nop 0
	v_pk_fma_f32 v[46:47], v[24:25], v[30:31], v[44:45] neg_lo:[0,0,1] neg_hi:[0,0,1]
	v_pk_fma_f32 v[30:31], v[24:25], v[30:31], v[44:45]
	s_nop 0
	v_mov_b32_e32 v47, v31
	s_waitcnt vmcnt(0)
	v_pk_add_f32 v[28:29], v[28:29], v[46:47]
	global_store_dwordx2 v[6:7], v[28:29], off
	v_lshl_add_u64 v[6:7], v[6:7], 0, s[30:31]
	s_andn2_b64 exec, exec, s[44:45]
	s_cbranch_execnz .LBB24_33
	s_branch .LBB24_7
.LBB24_34:
	s_endpgm
	.section	.rodata,"a",@progbits
	.p2align	6, 0x0
	.amdhsa_kernel _ZN9rocsolver6v33100L22larf_left_kernel_smallILi1024E19rocblas_complex_numIfElPS3_EEvT1_S5_T2_lS5_lPKT0_lS6_lS5_l
		.amdhsa_group_segment_fixed_size 24576
		.amdhsa_private_segment_fixed_size 0
		.amdhsa_kernarg_size 96
		.amdhsa_user_sgpr_count 2
		.amdhsa_user_sgpr_dispatch_ptr 0
		.amdhsa_user_sgpr_queue_ptr 0
		.amdhsa_user_sgpr_kernarg_segment_ptr 1
		.amdhsa_user_sgpr_dispatch_id 0
		.amdhsa_user_sgpr_kernarg_preload_length 0
		.amdhsa_user_sgpr_kernarg_preload_offset 0
		.amdhsa_user_sgpr_private_segment_size 0
		.amdhsa_uses_dynamic_stack 0
		.amdhsa_enable_private_segment 0
		.amdhsa_system_sgpr_workgroup_id_x 1
		.amdhsa_system_sgpr_workgroup_id_y 1
		.amdhsa_system_sgpr_workgroup_id_z 0
		.amdhsa_system_sgpr_workgroup_info 0
		.amdhsa_system_vgpr_workitem_id 0
		.amdhsa_next_free_vgpr 56
		.amdhsa_next_free_sgpr 52
		.amdhsa_accum_offset 56
		.amdhsa_reserve_vcc 1
		.amdhsa_float_round_mode_32 0
		.amdhsa_float_round_mode_16_64 0
		.amdhsa_float_denorm_mode_32 3
		.amdhsa_float_denorm_mode_16_64 3
		.amdhsa_dx10_clamp 1
		.amdhsa_ieee_mode 1
		.amdhsa_fp16_overflow 0
		.amdhsa_tg_split 0
		.amdhsa_exception_fp_ieee_invalid_op 0
		.amdhsa_exception_fp_denorm_src 0
		.amdhsa_exception_fp_ieee_div_zero 0
		.amdhsa_exception_fp_ieee_overflow 0
		.amdhsa_exception_fp_ieee_underflow 0
		.amdhsa_exception_fp_ieee_inexact 0
		.amdhsa_exception_int_div_zero 0
	.end_amdhsa_kernel
	.section	.text._ZN9rocsolver6v33100L22larf_left_kernel_smallILi1024E19rocblas_complex_numIfElPS3_EEvT1_S5_T2_lS5_lPKT0_lS6_lS5_l,"axG",@progbits,_ZN9rocsolver6v33100L22larf_left_kernel_smallILi1024E19rocblas_complex_numIfElPS3_EEvT1_S5_T2_lS5_lPKT0_lS6_lS5_l,comdat
.Lfunc_end24:
	.size	_ZN9rocsolver6v33100L22larf_left_kernel_smallILi1024E19rocblas_complex_numIfElPS3_EEvT1_S5_T2_lS5_lPKT0_lS6_lS5_l, .Lfunc_end24-_ZN9rocsolver6v33100L22larf_left_kernel_smallILi1024E19rocblas_complex_numIfElPS3_EEvT1_S5_T2_lS5_lPKT0_lS6_lS5_l
                                        ; -- End function
	.set _ZN9rocsolver6v33100L22larf_left_kernel_smallILi1024E19rocblas_complex_numIfElPS3_EEvT1_S5_T2_lS5_lPKT0_lS6_lS5_l.num_vgpr, 56
	.set _ZN9rocsolver6v33100L22larf_left_kernel_smallILi1024E19rocblas_complex_numIfElPS3_EEvT1_S5_T2_lS5_lPKT0_lS6_lS5_l.num_agpr, 0
	.set _ZN9rocsolver6v33100L22larf_left_kernel_smallILi1024E19rocblas_complex_numIfElPS3_EEvT1_S5_T2_lS5_lPKT0_lS6_lS5_l.numbered_sgpr, 52
	.set _ZN9rocsolver6v33100L22larf_left_kernel_smallILi1024E19rocblas_complex_numIfElPS3_EEvT1_S5_T2_lS5_lPKT0_lS6_lS5_l.num_named_barrier, 0
	.set _ZN9rocsolver6v33100L22larf_left_kernel_smallILi1024E19rocblas_complex_numIfElPS3_EEvT1_S5_T2_lS5_lPKT0_lS6_lS5_l.private_seg_size, 0
	.set _ZN9rocsolver6v33100L22larf_left_kernel_smallILi1024E19rocblas_complex_numIfElPS3_EEvT1_S5_T2_lS5_lPKT0_lS6_lS5_l.uses_vcc, 1
	.set _ZN9rocsolver6v33100L22larf_left_kernel_smallILi1024E19rocblas_complex_numIfElPS3_EEvT1_S5_T2_lS5_lPKT0_lS6_lS5_l.uses_flat_scratch, 0
	.set _ZN9rocsolver6v33100L22larf_left_kernel_smallILi1024E19rocblas_complex_numIfElPS3_EEvT1_S5_T2_lS5_lPKT0_lS6_lS5_l.has_dyn_sized_stack, 0
	.set _ZN9rocsolver6v33100L22larf_left_kernel_smallILi1024E19rocblas_complex_numIfElPS3_EEvT1_S5_T2_lS5_lPKT0_lS6_lS5_l.has_recursion, 0
	.set _ZN9rocsolver6v33100L22larf_left_kernel_smallILi1024E19rocblas_complex_numIfElPS3_EEvT1_S5_T2_lS5_lPKT0_lS6_lS5_l.has_indirect_call, 0
	.section	.AMDGPU.csdata,"",@progbits
; Kernel info:
; codeLenInByte = 2228
; TotalNumSgprs: 58
; NumVgprs: 56
; NumAgprs: 0
; TotalNumVgprs: 56
; ScratchSize: 0
; MemoryBound: 0
; FloatMode: 240
; IeeeMode: 1
; LDSByteSize: 24576 bytes/workgroup (compile time only)
; SGPRBlocks: 7
; VGPRBlocks: 6
; NumSGPRsForWavesPerEU: 58
; NumVGPRsForWavesPerEU: 56
; AccumOffset: 56
; Occupancy: 8
; WaveLimiterHint : 1
; COMPUTE_PGM_RSRC2:SCRATCH_EN: 0
; COMPUTE_PGM_RSRC2:USER_SGPR: 2
; COMPUTE_PGM_RSRC2:TRAP_HANDLER: 0
; COMPUTE_PGM_RSRC2:TGID_X_EN: 1
; COMPUTE_PGM_RSRC2:TGID_Y_EN: 1
; COMPUTE_PGM_RSRC2:TGID_Z_EN: 0
; COMPUTE_PGM_RSRC2:TIDIG_COMP_CNT: 0
; COMPUTE_PGM_RSRC3_GFX90A:ACCUM_OFFSET: 13
; COMPUTE_PGM_RSRC3_GFX90A:TG_SPLIT: 0
	.section	.text._ZN9rocsolver6v33100L23larf_right_kernel_smallILi64E19rocblas_complex_numIfElPS3_EEvT1_S5_T2_lS5_lPKT0_lS6_lS5_l,"axG",@progbits,_ZN9rocsolver6v33100L23larf_right_kernel_smallILi64E19rocblas_complex_numIfElPS3_EEvT1_S5_T2_lS5_lPKT0_lS6_lS5_l,comdat
	.globl	_ZN9rocsolver6v33100L23larf_right_kernel_smallILi64E19rocblas_complex_numIfElPS3_EEvT1_S5_T2_lS5_lPKT0_lS6_lS5_l ; -- Begin function _ZN9rocsolver6v33100L23larf_right_kernel_smallILi64E19rocblas_complex_numIfElPS3_EEvT1_S5_T2_lS5_lPKT0_lS6_lS5_l
	.p2align	8
	.type	_ZN9rocsolver6v33100L23larf_right_kernel_smallILi64E19rocblas_complex_numIfElPS3_EEvT1_S5_T2_lS5_lPKT0_lS6_lS5_l,@function
_ZN9rocsolver6v33100L23larf_right_kernel_smallILi64E19rocblas_complex_numIfElPS3_EEvT1_S5_T2_lS5_lPKT0_lS6_lS5_l: ; @_ZN9rocsolver6v33100L23larf_right_kernel_smallILi64E19rocblas_complex_numIfElPS3_EEvT1_S5_T2_lS5_lPKT0_lS6_lS5_l
; %bb.0:
	s_load_dwordx16 s[8:23], s[0:1], 0x0
	s_mov_b32 s6, s3
	s_mov_b64 s[26:27], 0
	s_waitcnt lgkmcnt(0)
	v_cmp_gt_i64_e64 s[4:5], s[16:17], 0
	s_and_b64 vcc, exec, s[4:5]
	s_cbranch_vccnz .LBB25_2
; %bb.1:
	s_sub_u32 s3, 1, s10
	s_subb_u32 s4, 0, s11
	s_mul_i32 s4, s16, s4
	s_mul_hi_u32 s5, s16, s3
	s_add_i32 s4, s5, s4
	s_mul_i32 s5, s17, s3
	s_add_i32 s27, s4, s5
	s_mul_i32 s26, s16, s3
.LBB25_2:
	v_mov_b32_e32 v1, 0
	v_cmp_gt_i64_e64 s[4:5], s[10:11], v[0:1]
	v_lshlrev_b32_e32 v16, 3, v0
	s_and_saveexec_b64 s[24:25], s[4:5]
	s_cbranch_execz .LBB25_5
; %bb.3:
	s_mul_i32 s3, s19, s2
	s_mul_hi_u32 s7, s18, s2
	s_add_i32 s19, s7, s3
	s_mul_i32 s18, s18, s2
	s_lshl_b64 s[18:19], s[18:19], 3
	s_lshl_b64 s[26:27], s[26:27], 3
	;; [unrolled: 1-line block ×3, first 2 shown]
	s_add_u32 s3, s12, s14
	s_addc_u32 s7, s13, s15
	v_mad_u64_u32 v[2:3], s[28:29], s16, v0, 0
	s_add_u32 s3, s3, s26
	v_mov_b32_e32 v4, v3
	s_addc_u32 s7, s7, s27
	v_mad_u64_u32 v[4:5], s[28:29], s17, v0, v[4:5]
	s_add_u32 s12, s3, s18
	v_mov_b32_e32 v3, v4
	s_addc_u32 s13, s7, s19
	v_lshl_add_u64 v[2:3], v[2:3], 3, s[12:13]
	s_lshl_b64 s[12:13], s[16:17], 9
	v_lshlrev_b32_e32 v6, 3, v0
	s_mov_b64 s[14:15], 0
	v_mov_b64_e32 v[4:5], v[0:1]
.LBB25_4:                               ; =>This Inner Loop Header: Depth=1
	global_load_dwordx2 v[8:9], v[2:3], off
	v_lshl_add_u64 v[4:5], v[4:5], 0, 64
	v_cmp_le_i64_e32 vcc, s[10:11], v[4:5]
	v_lshl_add_u64 v[2:3], v[2:3], 0, s[12:13]
	s_or_b64 s[14:15], vcc, s[14:15]
	s_waitcnt vmcnt(0)
	ds_write_b64 v6, v[8:9]
	v_add_u32_e32 v6, 0x200, v6
	s_andn2_b64 exec, exec, s[14:15]
	s_cbranch_execnz .LBB25_4
.LBB25_5:
	s_or_b64 exec, exec, s[24:25]
	s_mov_b32 s7, 0
	v_mov_b64_e32 v[2:3], s[6:7]
	v_cmp_le_i64_e32 vcc, s[8:9], v[2:3]
	s_waitcnt lgkmcnt(0)
	; wave barrier
	s_cbranch_vccnz .LBB25_23
; %bb.6:
	s_load_dwordx8 s[12:19], s[0:1], 0x40
	s_mul_i32 s3, s23, s2
	v_lshrrev_b32_e32 v6, 3, v0
	v_or_b32_e32 v20, 0x4000, v6
	v_mov_b64_e32 v[6:7], s[8:9]
	s_waitcnt lgkmcnt(0)
	s_mul_i32 s1, s19, s2
	s_mul_hi_u32 s19, s18, s2
	s_mul_i32 s0, s18, s2
	s_add_i32 s1, s19, s1
	s_lshl_b64 s[28:29], s[0:1], 3
	s_add_u32 s0, s12, s28
	s_addc_u32 s1, s13, s29
	s_lshl_b64 s[30:31], s[14:15], 3
	s_add_u32 s24, s0, s30
	s_mul_hi_u32 s0, s22, s2
	s_addc_u32 s25, s1, s31
	s_add_i32 s1, s0, s3
	s_mul_i32 s0, s22, s2
	s_lshl_b64 s[0:1], s[0:1], 3
	s_add_u32 s0, s20, s0
	s_addc_u32 s1, s21, s1
	v_mad_u64_u32 v[2:3], s[20:21], s16, v0, 0
	v_mov_b32_e32 v4, v3
	s_cmp_gt_i32 s10, 1
	v_mad_u64_u32 v[4:5], s[20:21], s17, v0, v[4:5]
	s_cselect_b64 s[14:15], -1, 0
	s_lshl_b32 s26, s16, 6
	s_lshl_b64 s[20:21], s[6:7], 3
	s_add_u32 s12, s12, s20
	s_addc_u32 s13, s13, s21
	s_add_u32 s12, s12, s30
	s_addc_u32 s13, s13, s31
	s_add_u32 s12, s12, s28
	v_mbcnt_lo_u32_b32 v5, -1, 0
	v_mov_b32_e32 v3, v4
	s_addc_u32 s13, s13, s29
	v_mbcnt_hi_u32_b32 v18, -1, v5
	v_mov_b32_e32 v5, 0x80
	v_cmp_gt_i32_e64 s[2:3], s10, v0
	v_cmp_eq_u32_e64 s[18:19], 0, v0
	v_mul_lo_u32 v17, v0, s16
	v_lshl_add_u64 v[2:3], v[2:3], 3, s[12:13]
	s_lshl_b64 s[12:13], s[16:17], 9
	v_mov_b32_e32 v4, 0
	v_and_b32_e32 v19, 63, v18
	s_mov_b64 s[16:17], 0x200
	v_lshl_or_b32 v21, v18, 2, v5
	s_branch .LBB25_8
.LBB25_7:                               ;   in Loop: Header=BB25_8 Depth=1
	s_or_b64 exec, exec, s[8:9]
	s_add_u32 s6, s6, 64
	s_addc_u32 s7, s7, 0
	v_cmp_ge_i64_e32 vcc, s[6:7], v[6:7]
	v_lshl_add_u64 v[2:3], v[2:3], 0, s[16:17]
	s_cbranch_vccnz .LBB25_23
.LBB25_8:                               ; =>This Loop Header: Depth=1
                                        ;     Child Loop BB25_10 Depth 2
                                        ;     Child Loop BB25_22 Depth 2
	v_mov_b32_e32 v5, v4
	v_mov_b64_e32 v[8:9], v[4:5]
	s_and_saveexec_b64 s[8:9], s[2:3]
	s_cbranch_execz .LBB25_12
; %bb.9:                                ;   in Loop: Header=BB25_8 Depth=1
	s_lshl_b64 s[20:21], s[6:7], 3
	s_add_u32 s20, s24, s20
	v_mov_b32_e32 v8, 0
	s_addc_u32 s21, s25, s21
	s_mov_b64 s[22:23], 0
	v_mov_b32_e32 v10, v17
	v_mov_b32_e32 v5, v16
	;; [unrolled: 1-line block ×4, first 2 shown]
.LBB25_10:                              ;   Parent Loop BB25_8 Depth=1
                                        ; =>  This Inner Loop Header: Depth=2
	v_ashrrev_i32_e32 v11, 31, v10
	v_lshl_add_u64 v[14:15], v[10:11], 3, s[20:21]
	global_load_dwordx2 v[14:15], v[14:15], off
	ds_read_b64 v[22:23], v5
	v_add_u32_e32 v12, 64, v12
	v_cmp_le_i32_e32 vcc, s10, v12
	v_add_u32_e32 v5, 0x200, v5
	v_add_u32_e32 v10, s26, v10
	s_or_b64 s[22:23], vcc, s[22:23]
	s_waitcnt vmcnt(0) lgkmcnt(0)
	v_pk_mul_f32 v[24:25], v[14:15], v[22:23] op_sel:[1,1] op_sel_hi:[0,1]
	v_pk_fma_f32 v[26:27], v[14:15], v[22:23], v[24:25] neg_lo:[0,0,1] neg_hi:[0,0,1]
	v_pk_fma_f32 v[14:15], v[14:15], v[22:23], v[24:25] op_sel_hi:[1,0,1]
	s_nop 0
	v_mov_b32_e32 v27, v15
	v_pk_add_f32 v[8:9], v[8:9], v[26:27]
	s_andn2_b64 exec, exec, s[22:23]
	s_cbranch_execnz .LBB25_10
; %bb.11:                               ;   in Loop: Header=BB25_8 Depth=1
	s_or_b64 exec, exec, s[22:23]
.LBB25_12:                              ;   in Loop: Header=BB25_8 Depth=1
	s_or_b64 exec, exec, s[8:9]
	s_and_b64 vcc, exec, s[14:15]
	s_cbranch_vccz .LBB25_17
; %bb.13:                               ;   in Loop: Header=BB25_8 Depth=1
	v_cmp_ne_u32_e32 vcc, 63, v19
	s_nop 1
	v_addc_co_u32_e32 v5, vcc, 0, v18, vcc
	v_lshlrev_b32_e32 v5, 2, v5
	ds_bpermute_b32 v10, v5, v8
	ds_bpermute_b32 v11, v5, v9
	v_cmp_gt_u32_e32 vcc, 62, v19
	s_waitcnt lgkmcnt(0)
	v_pk_add_f32 v[10:11], v[8:9], v[10:11]
	v_cndmask_b32_e64 v5, 0, 2, vcc
	v_add_lshl_u32 v5, v5, v18, 2
	ds_bpermute_b32 v12, v5, v10
	ds_bpermute_b32 v13, v5, v11
	v_cmp_gt_u32_e32 vcc, 60, v19
	s_waitcnt lgkmcnt(0)
	v_pk_add_f32 v[10:11], v[10:11], v[12:13]
	v_cndmask_b32_e64 v5, 0, 4, vcc
	v_add_lshl_u32 v5, v5, v18, 2
	;; [unrolled: 7-line block ×4, first 2 shown]
	ds_bpermute_b32 v12, v5, v10
	ds_bpermute_b32 v13, v5, v11
	s_waitcnt lgkmcnt(0)
	v_pk_add_f32 v[10:11], v[10:11], v[12:13]
	ds_bpermute_b32 v12, v21, v10
	ds_bpermute_b32 v13, v21, v11
	s_waitcnt lgkmcnt(0)
	v_pk_add_f32 v[10:11], v[10:11], v[12:13]
	s_and_saveexec_b64 s[8:9], s[18:19]
; %bb.14:                               ;   in Loop: Header=BB25_8 Depth=1
	ds_write2_b32 v20, v10, v11 offset1:1
; %bb.15:                               ;   in Loop: Header=BB25_8 Depth=1
	s_or_b64 exec, exec, s[8:9]
	s_waitcnt lgkmcnt(0)
	; wave barrier
	s_mov_b64 s[8:9], s[18:19]
.LBB25_16:                              ;   in Loop: Header=BB25_8 Depth=1
	v_mov_b64_e32 v[8:9], v[10:11]
	s_and_saveexec_b64 s[20:21], s[8:9]
	s_cbranch_execnz .LBB25_19
	s_branch .LBB25_20
.LBB25_17:                              ;   in Loop: Header=BB25_8 Depth=1
	s_mov_b64 s[8:9], 0
                                        ; implicit-def: $vgpr10_vgpr11
	s_cbranch_execz .LBB25_16
; %bb.18:                               ;   in Loop: Header=BB25_8 Depth=1
	s_andn2_b64 s[8:9], s[8:9], exec
	s_and_b64 s[20:21], s[18:19], exec
	s_or_b64 s[8:9], s[8:9], s[20:21]
	s_and_saveexec_b64 s[20:21], s[8:9]
.LBB25_19:                              ;   in Loop: Header=BB25_8 Depth=1
	ds_write_b64 v4, v[8:9] offset:16384
.LBB25_20:                              ;   in Loop: Header=BB25_8 Depth=1
	s_or_b64 exec, exec, s[20:21]
	s_waitcnt lgkmcnt(0)
	; wave barrier
	s_and_saveexec_b64 s[8:9], s[4:5]
	s_cbranch_execz .LBB25_7
; %bb.21:                               ;   in Loop: Header=BB25_8 Depth=1
	global_load_dwordx2 v[10:11], v4, s[0:1]
	ds_read_b64 v[12:13], v4 offset:16384
	s_mov_b64 s[20:21], 0
	v_mov_b32_e32 v5, v16
	v_mov_b64_e32 v[8:9], v[2:3]
	s_waitcnt vmcnt(0) lgkmcnt(0)
	v_mul_f32_e32 v14, v10, v12
	v_mul_f32_e32 v15, v10, v13
	v_fma_f32 v10, v11, v13, -v14
	v_fma_f32 v12, v12, -v11, -v15
	v_mov_b32_e32 v13, v12
	v_mov_b32_e32 v11, v10
	v_mov_b64_e32 v[14:15], v[0:1]
.LBB25_22:                              ;   Parent Loop BB25_8 Depth=1
                                        ; =>  This Inner Loop Header: Depth=2
	global_load_dwordx2 v[22:23], v[8:9], off
	ds_read_b64 v[24:25], v5
	v_lshl_add_u64 v[14:15], v[14:15], 0, 64
	v_cmp_le_i64_e32 vcc, s[10:11], v[14:15]
	s_or_b64 s[20:21], vcc, s[20:21]
	v_add_u32_e32 v5, 0x200, v5
	s_waitcnt lgkmcnt(0)
	v_pk_mul_f32 v[26:27], v[10:11], v[24:25]
	s_nop 0
	v_pk_fma_f32 v[28:29], v[12:13], v[24:25], v[26:27] op_sel:[0,1,0] op_sel_hi:[1,0,1]
	v_pk_fma_f32 v[24:25], v[12:13], v[24:25], v[26:27] op_sel:[0,1,0] op_sel_hi:[1,0,1] neg_lo:[0,0,1] neg_hi:[0,0,1]
	s_nop 0
	v_mov_b32_e32 v29, v25
	s_waitcnt vmcnt(0)
	v_pk_add_f32 v[22:23], v[22:23], v[28:29]
	global_store_dwordx2 v[8:9], v[22:23], off
	v_lshl_add_u64 v[8:9], v[8:9], 0, s[12:13]
	s_andn2_b64 exec, exec, s[20:21]
	s_cbranch_execnz .LBB25_22
	s_branch .LBB25_7
.LBB25_23:
	s_endpgm
	.section	.rodata,"a",@progbits
	.p2align	6, 0x0
	.amdhsa_kernel _ZN9rocsolver6v33100L23larf_right_kernel_smallILi64E19rocblas_complex_numIfElPS3_EEvT1_S5_T2_lS5_lPKT0_lS6_lS5_l
		.amdhsa_group_segment_fixed_size 16392
		.amdhsa_private_segment_fixed_size 0
		.amdhsa_kernarg_size 96
		.amdhsa_user_sgpr_count 2
		.amdhsa_user_sgpr_dispatch_ptr 0
		.amdhsa_user_sgpr_queue_ptr 0
		.amdhsa_user_sgpr_kernarg_segment_ptr 1
		.amdhsa_user_sgpr_dispatch_id 0
		.amdhsa_user_sgpr_kernarg_preload_length 0
		.amdhsa_user_sgpr_kernarg_preload_offset 0
		.amdhsa_user_sgpr_private_segment_size 0
		.amdhsa_uses_dynamic_stack 0
		.amdhsa_enable_private_segment 0
		.amdhsa_system_sgpr_workgroup_id_x 1
		.amdhsa_system_sgpr_workgroup_id_y 1
		.amdhsa_system_sgpr_workgroup_id_z 0
		.amdhsa_system_sgpr_workgroup_info 0
		.amdhsa_system_vgpr_workitem_id 0
		.amdhsa_next_free_vgpr 129
		.amdhsa_next_free_sgpr 96
		.amdhsa_accum_offset 32
		.amdhsa_reserve_vcc 1
		.amdhsa_float_round_mode_32 0
		.amdhsa_float_round_mode_16_64 0
		.amdhsa_float_denorm_mode_32 3
		.amdhsa_float_denorm_mode_16_64 3
		.amdhsa_dx10_clamp 1
		.amdhsa_ieee_mode 1
		.amdhsa_fp16_overflow 0
		.amdhsa_tg_split 0
		.amdhsa_exception_fp_ieee_invalid_op 0
		.amdhsa_exception_fp_denorm_src 0
		.amdhsa_exception_fp_ieee_div_zero 0
		.amdhsa_exception_fp_ieee_overflow 0
		.amdhsa_exception_fp_ieee_underflow 0
		.amdhsa_exception_fp_ieee_inexact 0
		.amdhsa_exception_int_div_zero 0
	.end_amdhsa_kernel
	.section	.text._ZN9rocsolver6v33100L23larf_right_kernel_smallILi64E19rocblas_complex_numIfElPS3_EEvT1_S5_T2_lS5_lPKT0_lS6_lS5_l,"axG",@progbits,_ZN9rocsolver6v33100L23larf_right_kernel_smallILi64E19rocblas_complex_numIfElPS3_EEvT1_S5_T2_lS5_lPKT0_lS6_lS5_l,comdat
.Lfunc_end25:
	.size	_ZN9rocsolver6v33100L23larf_right_kernel_smallILi64E19rocblas_complex_numIfElPS3_EEvT1_S5_T2_lS5_lPKT0_lS6_lS5_l, .Lfunc_end25-_ZN9rocsolver6v33100L23larf_right_kernel_smallILi64E19rocblas_complex_numIfElPS3_EEvT1_S5_T2_lS5_lPKT0_lS6_lS5_l
                                        ; -- End function
	.set _ZN9rocsolver6v33100L23larf_right_kernel_smallILi64E19rocblas_complex_numIfElPS3_EEvT1_S5_T2_lS5_lPKT0_lS6_lS5_l.num_vgpr, 30
	.set _ZN9rocsolver6v33100L23larf_right_kernel_smallILi64E19rocblas_complex_numIfElPS3_EEvT1_S5_T2_lS5_lPKT0_lS6_lS5_l.num_agpr, 0
	.set _ZN9rocsolver6v33100L23larf_right_kernel_smallILi64E19rocblas_complex_numIfElPS3_EEvT1_S5_T2_lS5_lPKT0_lS6_lS5_l.numbered_sgpr, 32
	.set _ZN9rocsolver6v33100L23larf_right_kernel_smallILi64E19rocblas_complex_numIfElPS3_EEvT1_S5_T2_lS5_lPKT0_lS6_lS5_l.num_named_barrier, 0
	.set _ZN9rocsolver6v33100L23larf_right_kernel_smallILi64E19rocblas_complex_numIfElPS3_EEvT1_S5_T2_lS5_lPKT0_lS6_lS5_l.private_seg_size, 0
	.set _ZN9rocsolver6v33100L23larf_right_kernel_smallILi64E19rocblas_complex_numIfElPS3_EEvT1_S5_T2_lS5_lPKT0_lS6_lS5_l.uses_vcc, 1
	.set _ZN9rocsolver6v33100L23larf_right_kernel_smallILi64E19rocblas_complex_numIfElPS3_EEvT1_S5_T2_lS5_lPKT0_lS6_lS5_l.uses_flat_scratch, 0
	.set _ZN9rocsolver6v33100L23larf_right_kernel_smallILi64E19rocblas_complex_numIfElPS3_EEvT1_S5_T2_lS5_lPKT0_lS6_lS5_l.has_dyn_sized_stack, 0
	.set _ZN9rocsolver6v33100L23larf_right_kernel_smallILi64E19rocblas_complex_numIfElPS3_EEvT1_S5_T2_lS5_lPKT0_lS6_lS5_l.has_recursion, 0
	.set _ZN9rocsolver6v33100L23larf_right_kernel_smallILi64E19rocblas_complex_numIfElPS3_EEvT1_S5_T2_lS5_lPKT0_lS6_lS5_l.has_indirect_call, 0
	.section	.AMDGPU.csdata,"",@progbits
; Kernel info:
; codeLenInByte = 1268
; TotalNumSgprs: 38
; NumVgprs: 30
; NumAgprs: 0
; TotalNumVgprs: 30
; ScratchSize: 0
; MemoryBound: 0
; FloatMode: 240
; IeeeMode: 1
; LDSByteSize: 16392 bytes/workgroup (compile time only)
; SGPRBlocks: 12
; VGPRBlocks: 16
; NumSGPRsForWavesPerEU: 102
; NumVGPRsForWavesPerEU: 129
; AccumOffset: 32
; Occupancy: 3
; WaveLimiterHint : 0
; COMPUTE_PGM_RSRC2:SCRATCH_EN: 0
; COMPUTE_PGM_RSRC2:USER_SGPR: 2
; COMPUTE_PGM_RSRC2:TRAP_HANDLER: 0
; COMPUTE_PGM_RSRC2:TGID_X_EN: 1
; COMPUTE_PGM_RSRC2:TGID_Y_EN: 1
; COMPUTE_PGM_RSRC2:TGID_Z_EN: 0
; COMPUTE_PGM_RSRC2:TIDIG_COMP_CNT: 0
; COMPUTE_PGM_RSRC3_GFX90A:ACCUM_OFFSET: 7
; COMPUTE_PGM_RSRC3_GFX90A:TG_SPLIT: 0
	.section	.text._ZN9rocsolver6v33100L23larf_right_kernel_smallILi128E19rocblas_complex_numIfElPS3_EEvT1_S5_T2_lS5_lPKT0_lS6_lS5_l,"axG",@progbits,_ZN9rocsolver6v33100L23larf_right_kernel_smallILi128E19rocblas_complex_numIfElPS3_EEvT1_S5_T2_lS5_lPKT0_lS6_lS5_l,comdat
	.globl	_ZN9rocsolver6v33100L23larf_right_kernel_smallILi128E19rocblas_complex_numIfElPS3_EEvT1_S5_T2_lS5_lPKT0_lS6_lS5_l ; -- Begin function _ZN9rocsolver6v33100L23larf_right_kernel_smallILi128E19rocblas_complex_numIfElPS3_EEvT1_S5_T2_lS5_lPKT0_lS6_lS5_l
	.p2align	8
	.type	_ZN9rocsolver6v33100L23larf_right_kernel_smallILi128E19rocblas_complex_numIfElPS3_EEvT1_S5_T2_lS5_lPKT0_lS6_lS5_l,@function
_ZN9rocsolver6v33100L23larf_right_kernel_smallILi128E19rocblas_complex_numIfElPS3_EEvT1_S5_T2_lS5_lPKT0_lS6_lS5_l: ; @_ZN9rocsolver6v33100L23larf_right_kernel_smallILi128E19rocblas_complex_numIfElPS3_EEvT1_S5_T2_lS5_lPKT0_lS6_lS5_l
; %bb.0:
	s_load_dwordx16 s[12:27], s[0:1], 0x0
	s_mov_b32 s10, s3
	s_mov_b64 s[6:7], 0
	s_waitcnt lgkmcnt(0)
	v_cmp_gt_i64_e64 s[4:5], s[20:21], 0
	s_and_b64 vcc, exec, s[4:5]
	s_cbranch_vccnz .LBB26_2
; %bb.1:
	s_sub_u32 s3, 1, s14
	s_subb_u32 s4, 0, s15
	s_mul_i32 s4, s20, s4
	s_mul_hi_u32 s5, s20, s3
	s_add_i32 s4, s5, s4
	s_mul_i32 s5, s21, s3
	s_add_i32 s7, s4, s5
	s_mul_i32 s6, s20, s3
.LBB26_2:
	v_mov_b32_e32 v1, 0
	v_cmp_gt_i64_e64 s[8:9], s[14:15], v[0:1]
	v_lshlrev_b32_e32 v16, 3, v0
	s_and_saveexec_b64 s[4:5], s[8:9]
	s_cbranch_execz .LBB26_5
; %bb.3:
	s_mul_i32 s3, s23, s2
	s_mul_hi_u32 s11, s22, s2
	s_add_i32 s23, s11, s3
	s_mul_i32 s22, s22, s2
	s_lshl_b64 s[22:23], s[22:23], 3
	s_lshl_b64 s[6:7], s[6:7], 3
	;; [unrolled: 1-line block ×3, first 2 shown]
	s_add_u32 s3, s16, s18
	s_addc_u32 s11, s17, s19
	v_mad_u64_u32 v[2:3], s[28:29], s20, v0, 0
	s_add_u32 s3, s3, s6
	v_mov_b32_e32 v4, v3
	s_addc_u32 s7, s11, s7
	v_mad_u64_u32 v[4:5], s[28:29], s21, v0, v[4:5]
	s_add_u32 s6, s3, s22
	v_mov_b32_e32 v3, v4
	s_addc_u32 s7, s7, s23
	v_lshl_add_u64 v[2:3], v[2:3], 3, s[6:7]
	s_lshl_b64 s[6:7], s[20:21], 10
	v_lshlrev_b32_e32 v6, 3, v0
	s_mov_b64 s[16:17], 0
	s_mov_b64 s[18:19], 0x80
	v_mov_b64_e32 v[4:5], v[0:1]
.LBB26_4:                               ; =>This Inner Loop Header: Depth=1
	global_load_dwordx2 v[8:9], v[2:3], off
	v_lshl_add_u64 v[4:5], v[4:5], 0, s[18:19]
	v_cmp_le_i64_e32 vcc, s[14:15], v[4:5]
	v_lshl_add_u64 v[2:3], v[2:3], 0, s[6:7]
	s_or_b64 s[16:17], vcc, s[16:17]
	s_waitcnt vmcnt(0)
	ds_write_b64 v6, v[8:9]
	v_add_u32_e32 v6, 0x400, v6
	s_andn2_b64 exec, exec, s[16:17]
	s_cbranch_execnz .LBB26_4
.LBB26_5:
	s_or_b64 exec, exec, s[4:5]
	s_mov_b32 s11, 0
	v_mov_b64_e32 v[2:3], s[10:11]
	v_cmp_le_i64_e32 vcc, s[12:13], v[2:3]
	s_waitcnt lgkmcnt(0)
	s_barrier
	s_cbranch_vccnz .LBB26_25
; %bb.6:
	s_load_dwordx8 s[16:23], s[0:1], 0x40
	s_mul_i32 s3, s27, s2
	v_and_b32_e32 v2, 63, v0
	v_lshrrev_b32_e32 v6, 3, v0
	v_cmp_eq_u32_e64 s[6:7], 0, v0
	s_waitcnt lgkmcnt(0)
	s_mul_i32 s1, s23, s2
	s_mul_hi_u32 s4, s22, s2
	s_mul_i32 s0, s22, s2
	s_add_i32 s1, s4, s1
	s_lshl_b64 s[22:23], s[0:1], 3
	s_add_u32 s0, s16, s22
	s_addc_u32 s1, s17, s23
	s_lshl_b64 s[34:35], s[18:19], 3
	s_add_u32 s28, s0, s34
	s_mul_hi_u32 s0, s26, s2
	s_addc_u32 s29, s1, s35
	s_add_i32 s1, s0, s3
	s_mul_i32 s0, s26, s2
	s_lshl_b64 s[0:1], s[0:1], 3
	s_add_u32 s0, s24, s0
	s_addc_u32 s1, s25, s1
	v_cmp_eq_u32_e64 s[4:5], 0, v2
	v_mad_u64_u32 v[2:3], s[24:25], s20, v0, 0
	v_mov_b32_e32 v4, v3
	s_cmp_gt_i32 s14, 1
	v_mad_u64_u32 v[4:5], s[24:25], s21, v0, v[4:5]
	s_cselect_b64 s[18:19], -1, 0
	s_lshl_b32 s30, s20, 7
	s_lshl_b64 s[24:25], s[10:11], 3
	s_add_u32 s16, s16, s24
	s_addc_u32 s17, s17, s25
	s_add_u32 s16, s16, s34
	s_addc_u32 s17, s17, s35
	s_add_u32 s16, s16, s22
	v_mbcnt_lo_u32_b32 v5, -1, 0
	v_mov_b32_e32 v3, v4
	s_addc_u32 s17, s17, s23
	v_mbcnt_hi_u32_b32 v18, -1, v5
	v_mov_b32_e32 v5, 0x80
	v_cmp_gt_i32_e64 s[2:3], s14, v0
	v_mul_lo_u32 v17, v0, s20
	v_lshl_add_u64 v[2:3], v[2:3], 3, s[16:17]
	s_lshl_b64 s[16:17], s[20:21], 10
	v_mov_b32_e32 v4, 0
	v_and_b32_e32 v19, 63, v18
	v_or_b32_e32 v20, 0x4000, v6
	s_mov_b64 s[20:21], 0x80
	s_mov_b64 s[22:23], 0x200
	v_mov_b64_e32 v[6:7], s[12:13]
	v_lshl_or_b32 v21, v18, 2, v5
	s_branch .LBB26_8
.LBB26_7:                               ;   in Loop: Header=BB26_8 Depth=1
	s_or_b64 exec, exec, s[12:13]
	s_add_u32 s10, s10, 64
	s_addc_u32 s11, s11, 0
	v_cmp_ge_i64_e32 vcc, s[10:11], v[6:7]
	v_lshl_add_u64 v[2:3], v[2:3], 0, s[22:23]
	s_cbranch_vccnz .LBB26_25
.LBB26_8:                               ; =>This Loop Header: Depth=1
                                        ;     Child Loop BB26_10 Depth 2
                                        ;     Child Loop BB26_24 Depth 2
	v_mov_b32_e32 v5, v4
	v_mov_b64_e32 v[8:9], v[4:5]
	s_and_saveexec_b64 s[12:13], s[2:3]
	s_cbranch_execz .LBB26_12
; %bb.9:                                ;   in Loop: Header=BB26_8 Depth=1
	s_lshl_b64 s[24:25], s[10:11], 3
	s_add_u32 s24, s28, s24
	v_mov_b32_e32 v8, 0
	s_addc_u32 s25, s29, s25
	s_mov_b64 s[26:27], 0
	v_mov_b32_e32 v10, v17
	v_mov_b32_e32 v5, v16
	;; [unrolled: 1-line block ×4, first 2 shown]
.LBB26_10:                              ;   Parent Loop BB26_8 Depth=1
                                        ; =>  This Inner Loop Header: Depth=2
	v_ashrrev_i32_e32 v11, 31, v10
	v_lshl_add_u64 v[14:15], v[10:11], 3, s[24:25]
	global_load_dwordx2 v[14:15], v[14:15], off
	ds_read_b64 v[22:23], v5
	v_add_u32_e32 v12, 0x80, v12
	v_cmp_le_i32_e32 vcc, s14, v12
	v_add_u32_e32 v5, 0x400, v5
	v_add_u32_e32 v10, s30, v10
	s_or_b64 s[26:27], vcc, s[26:27]
	s_waitcnt vmcnt(0) lgkmcnt(0)
	v_mul_f32_e32 v11, v15, v23
	v_mul_f32_e32 v25, v14, v23
	v_fma_f32 v24, v14, v22, -v11
	v_fmac_f32_e32 v25, v15, v22
	v_pk_add_f32 v[8:9], v[8:9], v[24:25]
	s_andn2_b64 exec, exec, s[26:27]
	s_cbranch_execnz .LBB26_10
; %bb.11:                               ;   in Loop: Header=BB26_8 Depth=1
	s_or_b64 exec, exec, s[26:27]
.LBB26_12:                              ;   in Loop: Header=BB26_8 Depth=1
	s_or_b64 exec, exec, s[12:13]
	s_and_b64 vcc, exec, s[18:19]
	s_cbranch_vccz .LBB26_19
; %bb.13:                               ;   in Loop: Header=BB26_8 Depth=1
	v_cmp_ne_u32_e32 vcc, 63, v19
	s_nop 1
	v_addc_co_u32_e32 v5, vcc, 0, v18, vcc
	v_lshlrev_b32_e32 v5, 2, v5
	ds_bpermute_b32 v10, v5, v8
	ds_bpermute_b32 v11, v5, v9
	v_cmp_gt_u32_e32 vcc, 62, v19
	s_waitcnt lgkmcnt(0)
	v_pk_add_f32 v[10:11], v[8:9], v[10:11]
	v_cndmask_b32_e64 v5, 0, 2, vcc
	v_add_lshl_u32 v5, v5, v18, 2
	ds_bpermute_b32 v12, v5, v10
	ds_bpermute_b32 v13, v5, v11
	v_cmp_gt_u32_e32 vcc, 60, v19
	s_waitcnt lgkmcnt(0)
	v_pk_add_f32 v[10:11], v[10:11], v[12:13]
	v_cndmask_b32_e64 v5, 0, 4, vcc
	v_add_lshl_u32 v5, v5, v18, 2
	;; [unrolled: 7-line block ×4, first 2 shown]
	ds_bpermute_b32 v12, v5, v10
	ds_bpermute_b32 v13, v5, v11
	s_waitcnt lgkmcnt(0)
	v_pk_add_f32 v[10:11], v[10:11], v[12:13]
	ds_bpermute_b32 v12, v21, v10
	ds_bpermute_b32 v13, v21, v11
	s_waitcnt lgkmcnt(0)
	v_pk_add_f32 v[12:13], v[10:11], v[12:13]
	s_and_saveexec_b64 s[12:13], s[4:5]
; %bb.14:                               ;   in Loop: Header=BB26_8 Depth=1
	ds_write2_b32 v20, v12, v13 offset1:1
; %bb.15:                               ;   in Loop: Header=BB26_8 Depth=1
	s_or_b64 exec, exec, s[12:13]
	s_mov_b64 s[24:25], 0
	s_mov_b64 s[12:13], 0
	s_waitcnt lgkmcnt(0)
	s_barrier
                                        ; implicit-def: $vgpr10_vgpr11
	s_and_saveexec_b64 s[26:27], s[6:7]
	s_xor_b64 s[26:27], exec, s[26:27]
	s_cbranch_execz .LBB26_17
; %bb.16:                               ;   in Loop: Header=BB26_8 Depth=1
	ds_read_b64 v[10:11], v4 offset:16392
	s_mov_b64 s[12:13], exec
	s_waitcnt lgkmcnt(0)
	v_pk_add_f32 v[10:11], v[12:13], v[10:11]
.LBB26_17:                              ;   in Loop: Header=BB26_8 Depth=1
	s_or_b64 exec, exec, s[26:27]
	s_and_b64 vcc, exec, s[24:25]
	s_cbranch_vccnz .LBB26_20
.LBB26_18:                              ;   in Loop: Header=BB26_8 Depth=1
	v_mov_b64_e32 v[8:9], v[10:11]
	s_and_saveexec_b64 s[24:25], s[12:13]
	s_cbranch_execnz .LBB26_21
	s_branch .LBB26_22
.LBB26_19:                              ;   in Loop: Header=BB26_8 Depth=1
	s_mov_b64 s[12:13], 0
                                        ; implicit-def: $vgpr10_vgpr11
	s_cbranch_execz .LBB26_18
.LBB26_20:                              ;   in Loop: Header=BB26_8 Depth=1
	s_andn2_b64 s[12:13], s[12:13], exec
	s_and_b64 s[24:25], s[6:7], exec
	s_or_b64 s[12:13], s[12:13], s[24:25]
	s_and_saveexec_b64 s[24:25], s[12:13]
.LBB26_21:                              ;   in Loop: Header=BB26_8 Depth=1
	ds_write_b64 v4, v[8:9] offset:16384
.LBB26_22:                              ;   in Loop: Header=BB26_8 Depth=1
	s_or_b64 exec, exec, s[24:25]
	s_waitcnt lgkmcnt(0)
	s_barrier
	s_and_saveexec_b64 s[12:13], s[8:9]
	s_cbranch_execz .LBB26_7
; %bb.23:                               ;   in Loop: Header=BB26_8 Depth=1
	global_load_dwordx2 v[10:11], v4, s[0:1]
	ds_read_b64 v[12:13], v4 offset:16384
	s_mov_b64 s[24:25], 0
	v_mov_b32_e32 v5, v16
	v_mov_b64_e32 v[8:9], v[2:3]
	s_waitcnt vmcnt(0) lgkmcnt(0)
	v_mul_f32_e32 v14, v10, v12
	v_mul_f32_e32 v15, v10, v13
	v_fma_f32 v10, v11, v13, -v14
	v_fma_f32 v12, v12, -v11, -v15
	v_mov_b32_e32 v13, v12
	v_mov_b32_e32 v11, v10
	v_mov_b64_e32 v[14:15], v[0:1]
.LBB26_24:                              ;   Parent Loop BB26_8 Depth=1
                                        ; =>  This Inner Loop Header: Depth=2
	global_load_dwordx2 v[22:23], v[8:9], off
	ds_read_b64 v[24:25], v5
	v_lshl_add_u64 v[14:15], v[14:15], 0, s[20:21]
	v_cmp_le_i64_e32 vcc, s[14:15], v[14:15]
	s_or_b64 s[24:25], vcc, s[24:25]
	v_add_u32_e32 v5, 0x400, v5
	s_waitcnt lgkmcnt(0)
	v_pk_mul_f32 v[26:27], v[10:11], v[24:25]
	s_nop 0
	v_pk_fma_f32 v[28:29], v[12:13], v[24:25], v[26:27] op_sel:[0,1,0] op_sel_hi:[1,0,1]
	v_pk_fma_f32 v[24:25], v[12:13], v[24:25], v[26:27] op_sel:[0,1,0] op_sel_hi:[1,0,1] neg_lo:[0,0,1] neg_hi:[0,0,1]
	s_nop 0
	v_mov_b32_e32 v29, v25
	s_waitcnt vmcnt(0)
	v_pk_add_f32 v[22:23], v[22:23], v[28:29]
	global_store_dwordx2 v[8:9], v[22:23], off
	v_lshl_add_u64 v[8:9], v[8:9], 0, s[16:17]
	s_andn2_b64 exec, exec, s[24:25]
	s_cbranch_execnz .LBB26_24
	s_branch .LBB26_7
.LBB26_25:
	s_endpgm
	.section	.rodata,"a",@progbits
	.p2align	6, 0x0
	.amdhsa_kernel _ZN9rocsolver6v33100L23larf_right_kernel_smallILi128E19rocblas_complex_numIfElPS3_EEvT1_S5_T2_lS5_lPKT0_lS6_lS5_l
		.amdhsa_group_segment_fixed_size 16400
		.amdhsa_private_segment_fixed_size 0
		.amdhsa_kernarg_size 96
		.amdhsa_user_sgpr_count 2
		.amdhsa_user_sgpr_dispatch_ptr 0
		.amdhsa_user_sgpr_queue_ptr 0
		.amdhsa_user_sgpr_kernarg_segment_ptr 1
		.amdhsa_user_sgpr_dispatch_id 0
		.amdhsa_user_sgpr_kernarg_preload_length 0
		.amdhsa_user_sgpr_kernarg_preload_offset 0
		.amdhsa_user_sgpr_private_segment_size 0
		.amdhsa_uses_dynamic_stack 0
		.amdhsa_enable_private_segment 0
		.amdhsa_system_sgpr_workgroup_id_x 1
		.amdhsa_system_sgpr_workgroup_id_y 1
		.amdhsa_system_sgpr_workgroup_id_z 0
		.amdhsa_system_sgpr_workgroup_info 0
		.amdhsa_system_vgpr_workitem_id 0
		.amdhsa_next_free_vgpr 81
		.amdhsa_next_free_sgpr 96
		.amdhsa_accum_offset 32
		.amdhsa_reserve_vcc 1
		.amdhsa_float_round_mode_32 0
		.amdhsa_float_round_mode_16_64 0
		.amdhsa_float_denorm_mode_32 3
		.amdhsa_float_denorm_mode_16_64 3
		.amdhsa_dx10_clamp 1
		.amdhsa_ieee_mode 1
		.amdhsa_fp16_overflow 0
		.amdhsa_tg_split 0
		.amdhsa_exception_fp_ieee_invalid_op 0
		.amdhsa_exception_fp_denorm_src 0
		.amdhsa_exception_fp_ieee_div_zero 0
		.amdhsa_exception_fp_ieee_overflow 0
		.amdhsa_exception_fp_ieee_underflow 0
		.amdhsa_exception_fp_ieee_inexact 0
		.amdhsa_exception_int_div_zero 0
	.end_amdhsa_kernel
	.section	.text._ZN9rocsolver6v33100L23larf_right_kernel_smallILi128E19rocblas_complex_numIfElPS3_EEvT1_S5_T2_lS5_lPKT0_lS6_lS5_l,"axG",@progbits,_ZN9rocsolver6v33100L23larf_right_kernel_smallILi128E19rocblas_complex_numIfElPS3_EEvT1_S5_T2_lS5_lPKT0_lS6_lS5_l,comdat
.Lfunc_end26:
	.size	_ZN9rocsolver6v33100L23larf_right_kernel_smallILi128E19rocblas_complex_numIfElPS3_EEvT1_S5_T2_lS5_lPKT0_lS6_lS5_l, .Lfunc_end26-_ZN9rocsolver6v33100L23larf_right_kernel_smallILi128E19rocblas_complex_numIfElPS3_EEvT1_S5_T2_lS5_lPKT0_lS6_lS5_l
                                        ; -- End function
	.set _ZN9rocsolver6v33100L23larf_right_kernel_smallILi128E19rocblas_complex_numIfElPS3_EEvT1_S5_T2_lS5_lPKT0_lS6_lS5_l.num_vgpr, 30
	.set _ZN9rocsolver6v33100L23larf_right_kernel_smallILi128E19rocblas_complex_numIfElPS3_EEvT1_S5_T2_lS5_lPKT0_lS6_lS5_l.num_agpr, 0
	.set _ZN9rocsolver6v33100L23larf_right_kernel_smallILi128E19rocblas_complex_numIfElPS3_EEvT1_S5_T2_lS5_lPKT0_lS6_lS5_l.numbered_sgpr, 36
	.set _ZN9rocsolver6v33100L23larf_right_kernel_smallILi128E19rocblas_complex_numIfElPS3_EEvT1_S5_T2_lS5_lPKT0_lS6_lS5_l.num_named_barrier, 0
	.set _ZN9rocsolver6v33100L23larf_right_kernel_smallILi128E19rocblas_complex_numIfElPS3_EEvT1_S5_T2_lS5_lPKT0_lS6_lS5_l.private_seg_size, 0
	.set _ZN9rocsolver6v33100L23larf_right_kernel_smallILi128E19rocblas_complex_numIfElPS3_EEvT1_S5_T2_lS5_lPKT0_lS6_lS5_l.uses_vcc, 1
	.set _ZN9rocsolver6v33100L23larf_right_kernel_smallILi128E19rocblas_complex_numIfElPS3_EEvT1_S5_T2_lS5_lPKT0_lS6_lS5_l.uses_flat_scratch, 0
	.set _ZN9rocsolver6v33100L23larf_right_kernel_smallILi128E19rocblas_complex_numIfElPS3_EEvT1_S5_T2_lS5_lPKT0_lS6_lS5_l.has_dyn_sized_stack, 0
	.set _ZN9rocsolver6v33100L23larf_right_kernel_smallILi128E19rocblas_complex_numIfElPS3_EEvT1_S5_T2_lS5_lPKT0_lS6_lS5_l.has_recursion, 0
	.set _ZN9rocsolver6v33100L23larf_right_kernel_smallILi128E19rocblas_complex_numIfElPS3_EEvT1_S5_T2_lS5_lPKT0_lS6_lS5_l.has_indirect_call, 0
	.section	.AMDGPU.csdata,"",@progbits
; Kernel info:
; codeLenInByte = 1352
; TotalNumSgprs: 42
; NumVgprs: 30
; NumAgprs: 0
; TotalNumVgprs: 30
; ScratchSize: 0
; MemoryBound: 0
; FloatMode: 240
; IeeeMode: 1
; LDSByteSize: 16400 bytes/workgroup (compile time only)
; SGPRBlocks: 12
; VGPRBlocks: 10
; NumSGPRsForWavesPerEU: 102
; NumVGPRsForWavesPerEU: 81
; AccumOffset: 32
; Occupancy: 5
; WaveLimiterHint : 0
; COMPUTE_PGM_RSRC2:SCRATCH_EN: 0
; COMPUTE_PGM_RSRC2:USER_SGPR: 2
; COMPUTE_PGM_RSRC2:TRAP_HANDLER: 0
; COMPUTE_PGM_RSRC2:TGID_X_EN: 1
; COMPUTE_PGM_RSRC2:TGID_Y_EN: 1
; COMPUTE_PGM_RSRC2:TGID_Z_EN: 0
; COMPUTE_PGM_RSRC2:TIDIG_COMP_CNT: 0
; COMPUTE_PGM_RSRC3_GFX90A:ACCUM_OFFSET: 7
; COMPUTE_PGM_RSRC3_GFX90A:TG_SPLIT: 0
	.section	.text._ZN9rocsolver6v33100L23larf_right_kernel_smallILi256E19rocblas_complex_numIfElPS3_EEvT1_S5_T2_lS5_lPKT0_lS6_lS5_l,"axG",@progbits,_ZN9rocsolver6v33100L23larf_right_kernel_smallILi256E19rocblas_complex_numIfElPS3_EEvT1_S5_T2_lS5_lPKT0_lS6_lS5_l,comdat
	.globl	_ZN9rocsolver6v33100L23larf_right_kernel_smallILi256E19rocblas_complex_numIfElPS3_EEvT1_S5_T2_lS5_lPKT0_lS6_lS5_l ; -- Begin function _ZN9rocsolver6v33100L23larf_right_kernel_smallILi256E19rocblas_complex_numIfElPS3_EEvT1_S5_T2_lS5_lPKT0_lS6_lS5_l
	.p2align	8
	.type	_ZN9rocsolver6v33100L23larf_right_kernel_smallILi256E19rocblas_complex_numIfElPS3_EEvT1_S5_T2_lS5_lPKT0_lS6_lS5_l,@function
_ZN9rocsolver6v33100L23larf_right_kernel_smallILi256E19rocblas_complex_numIfElPS3_EEvT1_S5_T2_lS5_lPKT0_lS6_lS5_l: ; @_ZN9rocsolver6v33100L23larf_right_kernel_smallILi256E19rocblas_complex_numIfElPS3_EEvT1_S5_T2_lS5_lPKT0_lS6_lS5_l
; %bb.0:
	s_load_dwordx16 s[12:27], s[0:1], 0x0
	s_mov_b32 s10, s3
	s_mov_b64 s[6:7], 0
	s_waitcnt lgkmcnt(0)
	v_cmp_gt_i64_e64 s[4:5], s[20:21], 0
	s_and_b64 vcc, exec, s[4:5]
	s_cbranch_vccnz .LBB27_2
; %bb.1:
	s_sub_u32 s3, 1, s14
	s_subb_u32 s4, 0, s15
	s_mul_i32 s4, s20, s4
	s_mul_hi_u32 s5, s20, s3
	s_add_i32 s4, s5, s4
	s_mul_i32 s5, s21, s3
	s_add_i32 s7, s4, s5
	s_mul_i32 s6, s20, s3
.LBB27_2:
	v_mov_b32_e32 v1, 0
	v_cmp_gt_i64_e64 s[8:9], s[14:15], v[0:1]
	v_lshlrev_b32_e32 v16, 3, v0
	s_and_saveexec_b64 s[4:5], s[8:9]
	s_cbranch_execz .LBB27_5
; %bb.3:
	s_mul_i32 s3, s23, s2
	s_mul_hi_u32 s11, s22, s2
	s_add_i32 s23, s11, s3
	s_mul_i32 s22, s22, s2
	s_lshl_b64 s[22:23], s[22:23], 3
	s_lshl_b64 s[6:7], s[6:7], 3
	;; [unrolled: 1-line block ×3, first 2 shown]
	s_add_u32 s3, s16, s18
	s_addc_u32 s11, s17, s19
	v_mad_u64_u32 v[2:3], s[28:29], s20, v0, 0
	s_add_u32 s3, s3, s6
	v_mov_b32_e32 v4, v3
	s_addc_u32 s7, s11, s7
	v_mad_u64_u32 v[4:5], s[28:29], s21, v0, v[4:5]
	s_add_u32 s6, s3, s22
	v_mov_b32_e32 v3, v4
	s_addc_u32 s7, s7, s23
	v_lshl_add_u64 v[2:3], v[2:3], 3, s[6:7]
	s_lshl_b64 s[6:7], s[20:21], 11
	v_lshlrev_b32_e32 v6, 3, v0
	s_mov_b64 s[16:17], 0
	s_mov_b64 s[18:19], 0x100
	v_mov_b64_e32 v[4:5], v[0:1]
.LBB27_4:                               ; =>This Inner Loop Header: Depth=1
	global_load_dwordx2 v[8:9], v[2:3], off
	v_lshl_add_u64 v[4:5], v[4:5], 0, s[18:19]
	v_cmp_le_i64_e32 vcc, s[14:15], v[4:5]
	v_lshl_add_u64 v[2:3], v[2:3], 0, s[6:7]
	s_or_b64 s[16:17], vcc, s[16:17]
	s_waitcnt vmcnt(0)
	ds_write_b64 v6, v[8:9]
	v_add_u32_e32 v6, 0x800, v6
	s_andn2_b64 exec, exec, s[16:17]
	s_cbranch_execnz .LBB27_4
.LBB27_5:
	s_or_b64 exec, exec, s[4:5]
	s_mov_b32 s11, 0
	v_mov_b64_e32 v[2:3], s[10:11]
	v_cmp_le_i64_e32 vcc, s[12:13], v[2:3]
	s_waitcnt lgkmcnt(0)
	s_barrier
	s_cbranch_vccnz .LBB27_25
; %bb.6:
	s_load_dwordx8 s[16:23], s[0:1], 0x40
	s_mul_i32 s3, s27, s2
	v_and_b32_e32 v2, 63, v0
	v_lshrrev_b32_e32 v6, 3, v0
	v_cmp_eq_u32_e64 s[6:7], 0, v0
	s_waitcnt lgkmcnt(0)
	s_mul_i32 s1, s23, s2
	s_mul_hi_u32 s4, s22, s2
	s_mul_i32 s0, s22, s2
	s_add_i32 s1, s4, s1
	s_lshl_b64 s[22:23], s[0:1], 3
	s_add_u32 s0, s16, s22
	s_addc_u32 s1, s17, s23
	s_lshl_b64 s[34:35], s[18:19], 3
	s_add_u32 s28, s0, s34
	s_mul_hi_u32 s0, s26, s2
	s_addc_u32 s29, s1, s35
	s_add_i32 s1, s0, s3
	s_mul_i32 s0, s26, s2
	s_lshl_b64 s[0:1], s[0:1], 3
	s_add_u32 s0, s24, s0
	s_addc_u32 s1, s25, s1
	v_cmp_eq_u32_e64 s[4:5], 0, v2
	v_mad_u64_u32 v[2:3], s[24:25], s20, v0, 0
	v_mov_b32_e32 v4, v3
	s_cmp_gt_i32 s14, 1
	v_mad_u64_u32 v[4:5], s[24:25], s21, v0, v[4:5]
	s_cselect_b64 s[18:19], -1, 0
	s_lshl_b32 s30, s20, 8
	s_lshl_b64 s[24:25], s[10:11], 3
	s_add_u32 s16, s16, s24
	s_addc_u32 s17, s17, s25
	s_add_u32 s16, s16, s34
	s_addc_u32 s17, s17, s35
	s_add_u32 s16, s16, s22
	v_mbcnt_lo_u32_b32 v5, -1, 0
	v_mov_b32_e32 v3, v4
	s_addc_u32 s17, s17, s23
	v_mbcnt_hi_u32_b32 v18, -1, v5
	v_mov_b32_e32 v5, 0x80
	v_cmp_gt_i32_e64 s[2:3], s14, v0
	v_mul_lo_u32 v17, v0, s20
	v_lshl_add_u64 v[2:3], v[2:3], 3, s[16:17]
	s_lshl_b64 s[16:17], s[20:21], 11
	v_mov_b32_e32 v4, 0
	v_and_b32_e32 v19, 63, v18
	v_or_b32_e32 v20, 0x4000, v6
	v_mov_b32_e32 v21, 0x4008
	s_mov_b64 s[20:21], 0x100
	s_mov_b64 s[22:23], 0x200
	v_mov_b64_e32 v[6:7], s[12:13]
	v_lshl_or_b32 v22, v18, 2, v5
	s_branch .LBB27_8
.LBB27_7:                               ;   in Loop: Header=BB27_8 Depth=1
	s_or_b64 exec, exec, s[12:13]
	s_add_u32 s10, s10, 64
	s_addc_u32 s11, s11, 0
	v_cmp_ge_i64_e32 vcc, s[10:11], v[6:7]
	v_lshl_add_u64 v[2:3], v[2:3], 0, s[22:23]
	s_cbranch_vccnz .LBB27_25
.LBB27_8:                               ; =>This Loop Header: Depth=1
                                        ;     Child Loop BB27_10 Depth 2
                                        ;     Child Loop BB27_24 Depth 2
	v_mov_b32_e32 v5, v4
	v_mov_b64_e32 v[8:9], v[4:5]
	s_and_saveexec_b64 s[12:13], s[2:3]
	s_cbranch_execz .LBB27_12
; %bb.9:                                ;   in Loop: Header=BB27_8 Depth=1
	s_lshl_b64 s[24:25], s[10:11], 3
	s_add_u32 s24, s28, s24
	s_addc_u32 s25, s29, s25
	v_mov_b32_e32 v9, 0
	s_mov_b64 s[26:27], 0
	v_mov_b32_e32 v10, v17
	v_mov_b32_e32 v5, v16
	;; [unrolled: 1-line block ×4, first 2 shown]
.LBB27_10:                              ;   Parent Loop BB27_8 Depth=1
                                        ; =>  This Inner Loop Header: Depth=2
	v_ashrrev_i32_e32 v11, 31, v10
	v_lshl_add_u64 v[14:15], v[10:11], 3, s[24:25]
	global_load_dwordx2 v[14:15], v[14:15], off
	ds_read_b64 v[24:25], v5
	v_add_u32_e32 v12, 0x100, v12
	v_cmp_le_i32_e32 vcc, s14, v12
	v_add_u32_e32 v5, 0x800, v5
	v_add_u32_e32 v10, s30, v10
	s_or_b64 s[26:27], vcc, s[26:27]
	s_waitcnt vmcnt(0) lgkmcnt(0)
	v_mul_f32_e32 v11, v15, v25
	v_mul_f32_e32 v13, v14, v25
	v_fma_f32 v11, v14, v24, -v11
	v_fmac_f32_e32 v13, v15, v24
	v_add_f32_e32 v8, v8, v11
	v_add_f32_e32 v9, v9, v13
	s_andn2_b64 exec, exec, s[26:27]
	s_cbranch_execnz .LBB27_10
; %bb.11:                               ;   in Loop: Header=BB27_8 Depth=1
	s_or_b64 exec, exec, s[26:27]
.LBB27_12:                              ;   in Loop: Header=BB27_8 Depth=1
	s_or_b64 exec, exec, s[12:13]
	s_and_b64 vcc, exec, s[18:19]
	s_cbranch_vccz .LBB27_19
; %bb.13:                               ;   in Loop: Header=BB27_8 Depth=1
	v_cmp_ne_u32_e32 vcc, 63, v19
	s_nop 1
	v_addc_co_u32_e32 v5, vcc, 0, v18, vcc
	v_lshlrev_b32_e32 v5, 2, v5
	ds_bpermute_b32 v10, v5, v8
	ds_bpermute_b32 v11, v5, v9
	v_cmp_gt_u32_e32 vcc, 62, v19
	s_waitcnt lgkmcnt(0)
	v_pk_add_f32 v[10:11], v[8:9], v[10:11]
	v_cndmask_b32_e64 v5, 0, 2, vcc
	v_add_lshl_u32 v5, v5, v18, 2
	ds_bpermute_b32 v12, v5, v10
	ds_bpermute_b32 v13, v5, v11
	v_cmp_gt_u32_e32 vcc, 60, v19
	s_waitcnt lgkmcnt(0)
	v_pk_add_f32 v[10:11], v[10:11], v[12:13]
	v_cndmask_b32_e64 v5, 0, 4, vcc
	v_add_lshl_u32 v5, v5, v18, 2
	;; [unrolled: 7-line block ×4, first 2 shown]
	ds_bpermute_b32 v12, v5, v10
	ds_bpermute_b32 v13, v5, v11
	s_waitcnt lgkmcnt(0)
	v_pk_add_f32 v[10:11], v[10:11], v[12:13]
	ds_bpermute_b32 v12, v22, v10
	ds_bpermute_b32 v13, v22, v11
	s_waitcnt lgkmcnt(0)
	v_pk_add_f32 v[12:13], v[10:11], v[12:13]
	s_and_saveexec_b64 s[12:13], s[4:5]
; %bb.14:                               ;   in Loop: Header=BB27_8 Depth=1
	ds_write2_b32 v20, v12, v13 offset1:1
; %bb.15:                               ;   in Loop: Header=BB27_8 Depth=1
	s_or_b64 exec, exec, s[12:13]
	s_mov_b64 s[24:25], 0
	s_mov_b64 s[12:13], 0
	s_waitcnt lgkmcnt(0)
	s_barrier
                                        ; implicit-def: $vgpr10_vgpr11
	s_and_saveexec_b64 s[26:27], s[6:7]
	s_xor_b64 s[26:27], exec, s[26:27]
	s_cbranch_execz .LBB27_17
; %bb.16:                               ;   in Loop: Header=BB27_8 Depth=1
	ds_read2_b64 v[24:27], v21 offset1:1
	ds_read_b64 v[10:11], v4 offset:16408
	s_mov_b64 s[12:13], exec
	s_waitcnt lgkmcnt(1)
	v_pk_add_f32 v[12:13], v[12:13], v[24:25]
	s_nop 0
	v_pk_add_f32 v[12:13], v[12:13], v[26:27]
	s_waitcnt lgkmcnt(0)
	v_pk_add_f32 v[10:11], v[12:13], v[10:11]
.LBB27_17:                              ;   in Loop: Header=BB27_8 Depth=1
	s_or_b64 exec, exec, s[26:27]
	s_and_b64 vcc, exec, s[24:25]
	s_cbranch_vccnz .LBB27_20
.LBB27_18:                              ;   in Loop: Header=BB27_8 Depth=1
	v_mov_b64_e32 v[8:9], v[10:11]
	s_and_saveexec_b64 s[24:25], s[12:13]
	s_cbranch_execnz .LBB27_21
	s_branch .LBB27_22
.LBB27_19:                              ;   in Loop: Header=BB27_8 Depth=1
	s_mov_b64 s[12:13], 0
                                        ; implicit-def: $vgpr10_vgpr11
	s_cbranch_execz .LBB27_18
.LBB27_20:                              ;   in Loop: Header=BB27_8 Depth=1
	s_andn2_b64 s[12:13], s[12:13], exec
	s_and_b64 s[24:25], s[6:7], exec
	s_or_b64 s[12:13], s[12:13], s[24:25]
	s_and_saveexec_b64 s[24:25], s[12:13]
.LBB27_21:                              ;   in Loop: Header=BB27_8 Depth=1
	ds_write_b64 v4, v[8:9] offset:16384
.LBB27_22:                              ;   in Loop: Header=BB27_8 Depth=1
	s_or_b64 exec, exec, s[24:25]
	s_waitcnt lgkmcnt(0)
	s_barrier
	s_and_saveexec_b64 s[12:13], s[8:9]
	s_cbranch_execz .LBB27_7
; %bb.23:                               ;   in Loop: Header=BB27_8 Depth=1
	global_load_dwordx2 v[10:11], v4, s[0:1]
	ds_read_b64 v[12:13], v4 offset:16384
	s_mov_b64 s[24:25], 0
	v_mov_b32_e32 v5, v16
	v_mov_b64_e32 v[8:9], v[2:3]
	s_waitcnt vmcnt(0) lgkmcnt(0)
	v_mul_f32_e32 v14, v10, v12
	v_mul_f32_e32 v15, v10, v13
	v_fma_f32 v10, v11, v13, -v14
	v_fma_f32 v12, v12, -v11, -v15
	v_mov_b32_e32 v13, v12
	v_mov_b32_e32 v11, v10
	v_mov_b64_e32 v[14:15], v[0:1]
.LBB27_24:                              ;   Parent Loop BB27_8 Depth=1
                                        ; =>  This Inner Loop Header: Depth=2
	global_load_dwordx2 v[24:25], v[8:9], off
	ds_read_b64 v[26:27], v5
	v_lshl_add_u64 v[14:15], v[14:15], 0, s[20:21]
	v_cmp_le_i64_e32 vcc, s[14:15], v[14:15]
	s_or_b64 s[24:25], vcc, s[24:25]
	v_add_u32_e32 v5, 0x800, v5
	s_waitcnt lgkmcnt(0)
	v_pk_mul_f32 v[28:29], v[10:11], v[26:27]
	s_nop 0
	v_pk_fma_f32 v[30:31], v[12:13], v[26:27], v[28:29] op_sel:[0,1,0] op_sel_hi:[1,0,1]
	v_pk_fma_f32 v[26:27], v[12:13], v[26:27], v[28:29] op_sel:[0,1,0] op_sel_hi:[1,0,1] neg_lo:[0,0,1] neg_hi:[0,0,1]
	s_nop 0
	v_mov_b32_e32 v31, v27
	s_waitcnt vmcnt(0)
	v_pk_add_f32 v[24:25], v[24:25], v[30:31]
	global_store_dwordx2 v[8:9], v[24:25], off
	v_lshl_add_u64 v[8:9], v[8:9], 0, s[16:17]
	s_andn2_b64 exec, exec, s[24:25]
	s_cbranch_execnz .LBB27_24
	s_branch .LBB27_7
.LBB27_25:
	s_endpgm
	.section	.rodata,"a",@progbits
	.p2align	6, 0x0
	.amdhsa_kernel _ZN9rocsolver6v33100L23larf_right_kernel_smallILi256E19rocblas_complex_numIfElPS3_EEvT1_S5_T2_lS5_lPKT0_lS6_lS5_l
		.amdhsa_group_segment_fixed_size 16416
		.amdhsa_private_segment_fixed_size 0
		.amdhsa_kernarg_size 96
		.amdhsa_user_sgpr_count 2
		.amdhsa_user_sgpr_dispatch_ptr 0
		.amdhsa_user_sgpr_queue_ptr 0
		.amdhsa_user_sgpr_kernarg_segment_ptr 1
		.amdhsa_user_sgpr_dispatch_id 0
		.amdhsa_user_sgpr_kernarg_preload_length 0
		.amdhsa_user_sgpr_kernarg_preload_offset 0
		.amdhsa_user_sgpr_private_segment_size 0
		.amdhsa_uses_dynamic_stack 0
		.amdhsa_enable_private_segment 0
		.amdhsa_system_sgpr_workgroup_id_x 1
		.amdhsa_system_sgpr_workgroup_id_y 1
		.amdhsa_system_sgpr_workgroup_id_z 0
		.amdhsa_system_sgpr_workgroup_info 0
		.amdhsa_system_vgpr_workitem_id 0
		.amdhsa_next_free_vgpr 32
		.amdhsa_next_free_sgpr 36
		.amdhsa_accum_offset 32
		.amdhsa_reserve_vcc 1
		.amdhsa_float_round_mode_32 0
		.amdhsa_float_round_mode_16_64 0
		.amdhsa_float_denorm_mode_32 3
		.amdhsa_float_denorm_mode_16_64 3
		.amdhsa_dx10_clamp 1
		.amdhsa_ieee_mode 1
		.amdhsa_fp16_overflow 0
		.amdhsa_tg_split 0
		.amdhsa_exception_fp_ieee_invalid_op 0
		.amdhsa_exception_fp_denorm_src 0
		.amdhsa_exception_fp_ieee_div_zero 0
		.amdhsa_exception_fp_ieee_overflow 0
		.amdhsa_exception_fp_ieee_underflow 0
		.amdhsa_exception_fp_ieee_inexact 0
		.amdhsa_exception_int_div_zero 0
	.end_amdhsa_kernel
	.section	.text._ZN9rocsolver6v33100L23larf_right_kernel_smallILi256E19rocblas_complex_numIfElPS3_EEvT1_S5_T2_lS5_lPKT0_lS6_lS5_l,"axG",@progbits,_ZN9rocsolver6v33100L23larf_right_kernel_smallILi256E19rocblas_complex_numIfElPS3_EEvT1_S5_T2_lS5_lPKT0_lS6_lS5_l,comdat
.Lfunc_end27:
	.size	_ZN9rocsolver6v33100L23larf_right_kernel_smallILi256E19rocblas_complex_numIfElPS3_EEvT1_S5_T2_lS5_lPKT0_lS6_lS5_l, .Lfunc_end27-_ZN9rocsolver6v33100L23larf_right_kernel_smallILi256E19rocblas_complex_numIfElPS3_EEvT1_S5_T2_lS5_lPKT0_lS6_lS5_l
                                        ; -- End function
	.set _ZN9rocsolver6v33100L23larf_right_kernel_smallILi256E19rocblas_complex_numIfElPS3_EEvT1_S5_T2_lS5_lPKT0_lS6_lS5_l.num_vgpr, 32
	.set _ZN9rocsolver6v33100L23larf_right_kernel_smallILi256E19rocblas_complex_numIfElPS3_EEvT1_S5_T2_lS5_lPKT0_lS6_lS5_l.num_agpr, 0
	.set _ZN9rocsolver6v33100L23larf_right_kernel_smallILi256E19rocblas_complex_numIfElPS3_EEvT1_S5_T2_lS5_lPKT0_lS6_lS5_l.numbered_sgpr, 36
	.set _ZN9rocsolver6v33100L23larf_right_kernel_smallILi256E19rocblas_complex_numIfElPS3_EEvT1_S5_T2_lS5_lPKT0_lS6_lS5_l.num_named_barrier, 0
	.set _ZN9rocsolver6v33100L23larf_right_kernel_smallILi256E19rocblas_complex_numIfElPS3_EEvT1_S5_T2_lS5_lPKT0_lS6_lS5_l.private_seg_size, 0
	.set _ZN9rocsolver6v33100L23larf_right_kernel_smallILi256E19rocblas_complex_numIfElPS3_EEvT1_S5_T2_lS5_lPKT0_lS6_lS5_l.uses_vcc, 1
	.set _ZN9rocsolver6v33100L23larf_right_kernel_smallILi256E19rocblas_complex_numIfElPS3_EEvT1_S5_T2_lS5_lPKT0_lS6_lS5_l.uses_flat_scratch, 0
	.set _ZN9rocsolver6v33100L23larf_right_kernel_smallILi256E19rocblas_complex_numIfElPS3_EEvT1_S5_T2_lS5_lPKT0_lS6_lS5_l.has_dyn_sized_stack, 0
	.set _ZN9rocsolver6v33100L23larf_right_kernel_smallILi256E19rocblas_complex_numIfElPS3_EEvT1_S5_T2_lS5_lPKT0_lS6_lS5_l.has_recursion, 0
	.set _ZN9rocsolver6v33100L23larf_right_kernel_smallILi256E19rocblas_complex_numIfElPS3_EEvT1_S5_T2_lS5_lPKT0_lS6_lS5_l.has_indirect_call, 0
	.section	.AMDGPU.csdata,"",@progbits
; Kernel info:
; codeLenInByte = 1392
; TotalNumSgprs: 42
; NumVgprs: 32
; NumAgprs: 0
; TotalNumVgprs: 32
; ScratchSize: 0
; MemoryBound: 0
; FloatMode: 240
; IeeeMode: 1
; LDSByteSize: 16416 bytes/workgroup (compile time only)
; SGPRBlocks: 5
; VGPRBlocks: 3
; NumSGPRsForWavesPerEU: 42
; NumVGPRsForWavesPerEU: 32
; AccumOffset: 32
; Occupancy: 8
; WaveLimiterHint : 0
; COMPUTE_PGM_RSRC2:SCRATCH_EN: 0
; COMPUTE_PGM_RSRC2:USER_SGPR: 2
; COMPUTE_PGM_RSRC2:TRAP_HANDLER: 0
; COMPUTE_PGM_RSRC2:TGID_X_EN: 1
; COMPUTE_PGM_RSRC2:TGID_Y_EN: 1
; COMPUTE_PGM_RSRC2:TGID_Z_EN: 0
; COMPUTE_PGM_RSRC2:TIDIG_COMP_CNT: 0
; COMPUTE_PGM_RSRC3_GFX90A:ACCUM_OFFSET: 7
; COMPUTE_PGM_RSRC3_GFX90A:TG_SPLIT: 0
	.section	.text._ZN9rocsolver6v33100L23larf_right_kernel_smallILi512E19rocblas_complex_numIfElPS3_EEvT1_S5_T2_lS5_lPKT0_lS6_lS5_l,"axG",@progbits,_ZN9rocsolver6v33100L23larf_right_kernel_smallILi512E19rocblas_complex_numIfElPS3_EEvT1_S5_T2_lS5_lPKT0_lS6_lS5_l,comdat
	.globl	_ZN9rocsolver6v33100L23larf_right_kernel_smallILi512E19rocblas_complex_numIfElPS3_EEvT1_S5_T2_lS5_lPKT0_lS6_lS5_l ; -- Begin function _ZN9rocsolver6v33100L23larf_right_kernel_smallILi512E19rocblas_complex_numIfElPS3_EEvT1_S5_T2_lS5_lPKT0_lS6_lS5_l
	.p2align	8
	.type	_ZN9rocsolver6v33100L23larf_right_kernel_smallILi512E19rocblas_complex_numIfElPS3_EEvT1_S5_T2_lS5_lPKT0_lS6_lS5_l,@function
_ZN9rocsolver6v33100L23larf_right_kernel_smallILi512E19rocblas_complex_numIfElPS3_EEvT1_S5_T2_lS5_lPKT0_lS6_lS5_l: ; @_ZN9rocsolver6v33100L23larf_right_kernel_smallILi512E19rocblas_complex_numIfElPS3_EEvT1_S5_T2_lS5_lPKT0_lS6_lS5_l
; %bb.0:
	s_load_dwordx16 s[12:27], s[0:1], 0x0
	s_mov_b32 s10, s3
	s_mov_b64 s[6:7], 0
	s_waitcnt lgkmcnt(0)
	v_cmp_gt_i64_e64 s[4:5], s[20:21], 0
	s_and_b64 vcc, exec, s[4:5]
	s_cbranch_vccnz .LBB28_2
; %bb.1:
	s_sub_u32 s3, 1, s14
	s_subb_u32 s4, 0, s15
	s_mul_i32 s4, s20, s4
	s_mul_hi_u32 s5, s20, s3
	s_add_i32 s4, s5, s4
	s_mul_i32 s5, s21, s3
	s_add_i32 s7, s4, s5
	s_mul_i32 s6, s20, s3
.LBB28_2:
	v_mov_b32_e32 v1, 0
	v_cmp_gt_i64_e64 s[8:9], s[14:15], v[0:1]
	v_lshlrev_b32_e32 v16, 3, v0
	s_and_saveexec_b64 s[4:5], s[8:9]
	s_cbranch_execz .LBB28_5
; %bb.3:
	s_mul_i32 s3, s23, s2
	s_mul_hi_u32 s11, s22, s2
	s_add_i32 s23, s11, s3
	s_mul_i32 s22, s22, s2
	s_lshl_b64 s[22:23], s[22:23], 3
	s_lshl_b64 s[6:7], s[6:7], 3
	;; [unrolled: 1-line block ×3, first 2 shown]
	s_add_u32 s3, s16, s18
	s_addc_u32 s11, s17, s19
	v_mad_u64_u32 v[2:3], s[28:29], s20, v0, 0
	s_add_u32 s3, s3, s6
	v_mov_b32_e32 v4, v3
	s_addc_u32 s7, s11, s7
	v_mad_u64_u32 v[4:5], s[28:29], s21, v0, v[4:5]
	s_add_u32 s6, s3, s22
	v_mov_b32_e32 v3, v4
	s_addc_u32 s7, s7, s23
	v_lshl_add_u64 v[2:3], v[2:3], 3, s[6:7]
	s_lshl_b64 s[6:7], s[20:21], 12
	v_lshlrev_b32_e32 v6, 3, v0
	s_mov_b64 s[16:17], 0
	s_mov_b64 s[18:19], 0x200
	v_mov_b64_e32 v[4:5], v[0:1]
.LBB28_4:                               ; =>This Inner Loop Header: Depth=1
	global_load_dwordx2 v[8:9], v[2:3], off
	v_lshl_add_u64 v[4:5], v[4:5], 0, s[18:19]
	v_cmp_le_i64_e32 vcc, s[14:15], v[4:5]
	v_lshl_add_u64 v[2:3], v[2:3], 0, s[6:7]
	s_or_b64 s[16:17], vcc, s[16:17]
	s_waitcnt vmcnt(0)
	ds_write_b64 v6, v[8:9]
	v_add_u32_e32 v6, 0x1000, v6
	s_andn2_b64 exec, exec, s[16:17]
	s_cbranch_execnz .LBB28_4
.LBB28_5:
	s_or_b64 exec, exec, s[4:5]
	s_mov_b32 s11, 0
	v_mov_b64_e32 v[2:3], s[10:11]
	v_cmp_le_i64_e32 vcc, s[12:13], v[2:3]
	s_waitcnt lgkmcnt(0)
	s_barrier
	s_cbranch_vccnz .LBB28_25
; %bb.6:
	s_load_dwordx8 s[16:23], s[0:1], 0x40
	s_mul_i32 s3, s27, s2
	v_and_b32_e32 v2, 63, v0
	v_lshrrev_b32_e32 v6, 3, v0
	v_cmp_eq_u32_e64 s[6:7], 0, v0
	s_waitcnt lgkmcnt(0)
	s_mul_i32 s1, s23, s2
	s_mul_hi_u32 s4, s22, s2
	s_mul_i32 s0, s22, s2
	s_add_i32 s1, s4, s1
	s_lshl_b64 s[22:23], s[0:1], 3
	s_add_u32 s0, s16, s22
	s_addc_u32 s1, s17, s23
	s_lshl_b64 s[30:31], s[18:19], 3
	s_add_u32 s27, s0, s30
	s_mul_hi_u32 s0, s26, s2
	s_addc_u32 s28, s1, s31
	s_add_i32 s1, s0, s3
	s_mul_i32 s0, s26, s2
	s_lshl_b64 s[0:1], s[0:1], 3
	s_add_u32 s0, s24, s0
	s_addc_u32 s1, s25, s1
	v_cmp_eq_u32_e64 s[4:5], 0, v2
	v_mad_u64_u32 v[2:3], s[24:25], s20, v0, 0
	v_mov_b32_e32 v4, v3
	s_cmp_gt_i32 s14, 1
	v_mad_u64_u32 v[4:5], s[24:25], s21, v0, v[4:5]
	s_cselect_b64 s[18:19], -1, 0
	s_lshl_b32 s26, s20, 9
	s_lshl_b64 s[24:25], s[10:11], 3
	s_add_u32 s16, s16, s24
	s_addc_u32 s17, s17, s25
	s_add_u32 s16, s16, s30
	s_addc_u32 s17, s17, s31
	s_add_u32 s16, s16, s22
	v_mbcnt_lo_u32_b32 v5, -1, 0
	v_mov_b32_e32 v3, v4
	s_addc_u32 s17, s17, s23
	v_mbcnt_hi_u32_b32 v18, -1, v5
	v_mov_b32_e32 v5, 0x80
	v_cmp_gt_i32_e64 s[2:3], s14, v0
	v_mul_lo_u32 v17, v0, s20
	v_lshl_add_u64 v[2:3], v[2:3], 3, s[16:17]
	s_lshl_b64 s[16:17], s[20:21], 12
	v_mov_b32_e32 v4, 0
	v_and_b32_e32 v19, 63, v18
	v_or_b32_e32 v20, 0x4000, v6
	v_mov_b32_e32 v21, 0x4008
	v_mov_b32_e32 v22, 0x4018
	v_mov_b32_e32 v23, 0x4028
	s_mov_b64 s[20:21], 0x200
	v_mov_b64_e32 v[6:7], s[12:13]
	v_lshl_or_b32 v24, v18, 2, v5
	s_branch .LBB28_8
.LBB28_7:                               ;   in Loop: Header=BB28_8 Depth=1
	s_or_b64 exec, exec, s[12:13]
	s_add_u32 s10, s10, 64
	s_addc_u32 s11, s11, 0
	v_cmp_ge_i64_e32 vcc, s[10:11], v[6:7]
	v_lshl_add_u64 v[2:3], v[2:3], 0, s[20:21]
	s_cbranch_vccnz .LBB28_25
.LBB28_8:                               ; =>This Loop Header: Depth=1
                                        ;     Child Loop BB28_10 Depth 2
                                        ;     Child Loop BB28_24 Depth 2
	v_mov_b32_e32 v5, v4
	v_mov_b64_e32 v[8:9], v[4:5]
	s_and_saveexec_b64 s[12:13], s[2:3]
	s_cbranch_execz .LBB28_12
; %bb.9:                                ;   in Loop: Header=BB28_8 Depth=1
	s_lshl_b64 s[22:23], s[10:11], 3
	s_add_u32 s22, s27, s22
	v_mov_b32_e32 v8, 0
	s_addc_u32 s23, s28, s23
	s_mov_b64 s[24:25], 0
	v_mov_b32_e32 v10, v17
	v_mov_b32_e32 v5, v16
	;; [unrolled: 1-line block ×4, first 2 shown]
.LBB28_10:                              ;   Parent Loop BB28_8 Depth=1
                                        ; =>  This Inner Loop Header: Depth=2
	v_ashrrev_i32_e32 v11, 31, v10
	v_lshl_add_u64 v[14:15], v[10:11], 3, s[22:23]
	global_load_dwordx2 v[14:15], v[14:15], off
	ds_read_b64 v[26:27], v5
	v_add_u32_e32 v12, 0x200, v12
	v_cmp_le_i32_e32 vcc, s14, v12
	v_add_u32_e32 v5, 0x1000, v5
	v_add_u32_e32 v10, s26, v10
	s_or_b64 s[24:25], vcc, s[24:25]
	s_waitcnt vmcnt(0) lgkmcnt(0)
	v_pk_mul_f32 v[28:29], v[14:15], v[26:27] op_sel:[1,1] op_sel_hi:[0,1]
	v_pk_fma_f32 v[30:31], v[14:15], v[26:27], v[28:29] neg_lo:[0,0,1] neg_hi:[0,0,1]
	v_pk_fma_f32 v[14:15], v[14:15], v[26:27], v[28:29] op_sel_hi:[1,0,1]
	s_nop 0
	v_mov_b32_e32 v31, v15
	v_pk_add_f32 v[8:9], v[8:9], v[30:31]
	s_andn2_b64 exec, exec, s[24:25]
	s_cbranch_execnz .LBB28_10
; %bb.11:                               ;   in Loop: Header=BB28_8 Depth=1
	s_or_b64 exec, exec, s[24:25]
.LBB28_12:                              ;   in Loop: Header=BB28_8 Depth=1
	s_or_b64 exec, exec, s[12:13]
	s_and_b64 vcc, exec, s[18:19]
	s_cbranch_vccz .LBB28_19
; %bb.13:                               ;   in Loop: Header=BB28_8 Depth=1
	v_cmp_ne_u32_e32 vcc, 63, v19
	s_nop 1
	v_addc_co_u32_e32 v5, vcc, 0, v18, vcc
	v_lshlrev_b32_e32 v5, 2, v5
	ds_bpermute_b32 v10, v5, v8
	ds_bpermute_b32 v11, v5, v9
	v_cmp_gt_u32_e32 vcc, 62, v19
	s_waitcnt lgkmcnt(0)
	v_pk_add_f32 v[10:11], v[8:9], v[10:11]
	v_cndmask_b32_e64 v5, 0, 2, vcc
	v_add_lshl_u32 v5, v5, v18, 2
	ds_bpermute_b32 v12, v5, v10
	ds_bpermute_b32 v13, v5, v11
	v_cmp_gt_u32_e32 vcc, 60, v19
	s_waitcnt lgkmcnt(0)
	v_pk_add_f32 v[10:11], v[10:11], v[12:13]
	v_cndmask_b32_e64 v5, 0, 4, vcc
	v_add_lshl_u32 v5, v5, v18, 2
	;; [unrolled: 7-line block ×4, first 2 shown]
	ds_bpermute_b32 v12, v5, v10
	ds_bpermute_b32 v13, v5, v11
	s_waitcnt lgkmcnt(0)
	v_pk_add_f32 v[10:11], v[10:11], v[12:13]
	ds_bpermute_b32 v12, v24, v10
	ds_bpermute_b32 v13, v24, v11
	s_waitcnt lgkmcnt(0)
	v_pk_add_f32 v[10:11], v[10:11], v[12:13]
	s_and_saveexec_b64 s[12:13], s[4:5]
; %bb.14:                               ;   in Loop: Header=BB28_8 Depth=1
	ds_write2_b32 v20, v10, v11 offset1:1
; %bb.15:                               ;   in Loop: Header=BB28_8 Depth=1
	s_or_b64 exec, exec, s[12:13]
	s_mov_b64 s[22:23], 0
	s_mov_b64 s[12:13], 0
	s_waitcnt lgkmcnt(0)
	s_barrier
                                        ; implicit-def: $vgpr12_vgpr13
	s_and_saveexec_b64 s[24:25], s[6:7]
	s_xor_b64 s[24:25], exec, s[24:25]
	s_cbranch_execz .LBB28_17
; %bb.16:                               ;   in Loop: Header=BB28_8 Depth=1
	ds_read2_b64 v[12:15], v21 offset1:1
	ds_read2_b64 v[26:29], v22 offset1:1
	;; [unrolled: 1-line block ×3, first 2 shown]
	ds_read_b64 v[34:35], v4 offset:16440
	s_mov_b64 s[12:13], exec
	s_waitcnt lgkmcnt(3)
	v_pk_add_f32 v[10:11], v[10:11], v[12:13]
	s_nop 0
	v_pk_add_f32 v[10:11], v[10:11], v[14:15]
	s_waitcnt lgkmcnt(2)
	v_pk_add_f32 v[10:11], v[10:11], v[26:27]
	s_nop 0
	v_pk_add_f32 v[10:11], v[10:11], v[28:29]
	;; [unrolled: 4-line block ×3, first 2 shown]
	s_waitcnt lgkmcnt(0)
	v_pk_add_f32 v[12:13], v[10:11], v[34:35]
.LBB28_17:                              ;   in Loop: Header=BB28_8 Depth=1
	s_or_b64 exec, exec, s[24:25]
	s_and_b64 vcc, exec, s[22:23]
	s_cbranch_vccnz .LBB28_20
.LBB28_18:                              ;   in Loop: Header=BB28_8 Depth=1
	v_mov_b64_e32 v[8:9], v[12:13]
	s_and_saveexec_b64 s[22:23], s[12:13]
	s_cbranch_execnz .LBB28_21
	s_branch .LBB28_22
.LBB28_19:                              ;   in Loop: Header=BB28_8 Depth=1
	s_mov_b64 s[12:13], 0
                                        ; implicit-def: $vgpr12_vgpr13
	s_cbranch_execz .LBB28_18
.LBB28_20:                              ;   in Loop: Header=BB28_8 Depth=1
	s_andn2_b64 s[12:13], s[12:13], exec
	s_and_b64 s[22:23], s[6:7], exec
	s_or_b64 s[12:13], s[12:13], s[22:23]
	s_and_saveexec_b64 s[22:23], s[12:13]
.LBB28_21:                              ;   in Loop: Header=BB28_8 Depth=1
	ds_write_b64 v4, v[8:9] offset:16384
.LBB28_22:                              ;   in Loop: Header=BB28_8 Depth=1
	s_or_b64 exec, exec, s[22:23]
	s_waitcnt lgkmcnt(0)
	s_barrier
	s_and_saveexec_b64 s[12:13], s[8:9]
	s_cbranch_execz .LBB28_7
; %bb.23:                               ;   in Loop: Header=BB28_8 Depth=1
	global_load_dwordx2 v[10:11], v4, s[0:1]
	ds_read_b64 v[12:13], v4 offset:16384
	s_mov_b64 s[22:23], 0
	v_mov_b32_e32 v5, v16
	v_mov_b64_e32 v[8:9], v[2:3]
	s_waitcnt vmcnt(0) lgkmcnt(0)
	v_mul_f32_e32 v14, v10, v12
	v_mul_f32_e32 v15, v10, v13
	v_fma_f32 v10, v11, v13, -v14
	v_fma_f32 v12, v12, -v11, -v15
	v_mov_b32_e32 v13, v12
	v_mov_b32_e32 v11, v10
	v_mov_b64_e32 v[14:15], v[0:1]
.LBB28_24:                              ;   Parent Loop BB28_8 Depth=1
                                        ; =>  This Inner Loop Header: Depth=2
	global_load_dwordx2 v[26:27], v[8:9], off
	ds_read_b64 v[28:29], v5
	v_lshl_add_u64 v[14:15], v[14:15], 0, s[20:21]
	v_cmp_le_i64_e32 vcc, s[14:15], v[14:15]
	s_or_b64 s[22:23], vcc, s[22:23]
	v_add_u32_e32 v5, 0x1000, v5
	s_waitcnt lgkmcnt(0)
	v_pk_mul_f32 v[30:31], v[10:11], v[28:29]
	s_nop 0
	v_pk_fma_f32 v[32:33], v[12:13], v[28:29], v[30:31] op_sel:[0,1,0] op_sel_hi:[1,0,1]
	v_pk_fma_f32 v[28:29], v[12:13], v[28:29], v[30:31] op_sel:[0,1,0] op_sel_hi:[1,0,1] neg_lo:[0,0,1] neg_hi:[0,0,1]
	s_nop 0
	v_mov_b32_e32 v33, v29
	s_waitcnt vmcnt(0)
	v_pk_add_f32 v[26:27], v[26:27], v[32:33]
	global_store_dwordx2 v[8:9], v[26:27], off
	v_lshl_add_u64 v[8:9], v[8:9], 0, s[16:17]
	s_andn2_b64 exec, exec, s[22:23]
	s_cbranch_execnz .LBB28_24
	s_branch .LBB28_7
.LBB28_25:
	s_endpgm
	.section	.rodata,"a",@progbits
	.p2align	6, 0x0
	.amdhsa_kernel _ZN9rocsolver6v33100L23larf_right_kernel_smallILi512E19rocblas_complex_numIfElPS3_EEvT1_S5_T2_lS5_lPKT0_lS6_lS5_l
		.amdhsa_group_segment_fixed_size 16448
		.amdhsa_private_segment_fixed_size 0
		.amdhsa_kernarg_size 96
		.amdhsa_user_sgpr_count 2
		.amdhsa_user_sgpr_dispatch_ptr 0
		.amdhsa_user_sgpr_queue_ptr 0
		.amdhsa_user_sgpr_kernarg_segment_ptr 1
		.amdhsa_user_sgpr_dispatch_id 0
		.amdhsa_user_sgpr_kernarg_preload_length 0
		.amdhsa_user_sgpr_kernarg_preload_offset 0
		.amdhsa_user_sgpr_private_segment_size 0
		.amdhsa_uses_dynamic_stack 0
		.amdhsa_enable_private_segment 0
		.amdhsa_system_sgpr_workgroup_id_x 1
		.amdhsa_system_sgpr_workgroup_id_y 1
		.amdhsa_system_sgpr_workgroup_id_z 0
		.amdhsa_system_sgpr_workgroup_info 0
		.amdhsa_system_vgpr_workitem_id 0
		.amdhsa_next_free_vgpr 36
		.amdhsa_next_free_sgpr 32
		.amdhsa_accum_offset 36
		.amdhsa_reserve_vcc 1
		.amdhsa_float_round_mode_32 0
		.amdhsa_float_round_mode_16_64 0
		.amdhsa_float_denorm_mode_32 3
		.amdhsa_float_denorm_mode_16_64 3
		.amdhsa_dx10_clamp 1
		.amdhsa_ieee_mode 1
		.amdhsa_fp16_overflow 0
		.amdhsa_tg_split 0
		.amdhsa_exception_fp_ieee_invalid_op 0
		.amdhsa_exception_fp_denorm_src 0
		.amdhsa_exception_fp_ieee_div_zero 0
		.amdhsa_exception_fp_ieee_overflow 0
		.amdhsa_exception_fp_ieee_underflow 0
		.amdhsa_exception_fp_ieee_inexact 0
		.amdhsa_exception_int_div_zero 0
	.end_amdhsa_kernel
	.section	.text._ZN9rocsolver6v33100L23larf_right_kernel_smallILi512E19rocblas_complex_numIfElPS3_EEvT1_S5_T2_lS5_lPKT0_lS6_lS5_l,"axG",@progbits,_ZN9rocsolver6v33100L23larf_right_kernel_smallILi512E19rocblas_complex_numIfElPS3_EEvT1_S5_T2_lS5_lPKT0_lS6_lS5_l,comdat
.Lfunc_end28:
	.size	_ZN9rocsolver6v33100L23larf_right_kernel_smallILi512E19rocblas_complex_numIfElPS3_EEvT1_S5_T2_lS5_lPKT0_lS6_lS5_l, .Lfunc_end28-_ZN9rocsolver6v33100L23larf_right_kernel_smallILi512E19rocblas_complex_numIfElPS3_EEvT1_S5_T2_lS5_lPKT0_lS6_lS5_l
                                        ; -- End function
	.set _ZN9rocsolver6v33100L23larf_right_kernel_smallILi512E19rocblas_complex_numIfElPS3_EEvT1_S5_T2_lS5_lPKT0_lS6_lS5_l.num_vgpr, 36
	.set _ZN9rocsolver6v33100L23larf_right_kernel_smallILi512E19rocblas_complex_numIfElPS3_EEvT1_S5_T2_lS5_lPKT0_lS6_lS5_l.num_agpr, 0
	.set _ZN9rocsolver6v33100L23larf_right_kernel_smallILi512E19rocblas_complex_numIfElPS3_EEvT1_S5_T2_lS5_lPKT0_lS6_lS5_l.numbered_sgpr, 32
	.set _ZN9rocsolver6v33100L23larf_right_kernel_smallILi512E19rocblas_complex_numIfElPS3_EEvT1_S5_T2_lS5_lPKT0_lS6_lS5_l.num_named_barrier, 0
	.set _ZN9rocsolver6v33100L23larf_right_kernel_smallILi512E19rocblas_complex_numIfElPS3_EEvT1_S5_T2_lS5_lPKT0_lS6_lS5_l.private_seg_size, 0
	.set _ZN9rocsolver6v33100L23larf_right_kernel_smallILi512E19rocblas_complex_numIfElPS3_EEvT1_S5_T2_lS5_lPKT0_lS6_lS5_l.uses_vcc, 1
	.set _ZN9rocsolver6v33100L23larf_right_kernel_smallILi512E19rocblas_complex_numIfElPS3_EEvT1_S5_T2_lS5_lPKT0_lS6_lS5_l.uses_flat_scratch, 0
	.set _ZN9rocsolver6v33100L23larf_right_kernel_smallILi512E19rocblas_complex_numIfElPS3_EEvT1_S5_T2_lS5_lPKT0_lS6_lS5_l.has_dyn_sized_stack, 0
	.set _ZN9rocsolver6v33100L23larf_right_kernel_smallILi512E19rocblas_complex_numIfElPS3_EEvT1_S5_T2_lS5_lPKT0_lS6_lS5_l.has_recursion, 0
	.set _ZN9rocsolver6v33100L23larf_right_kernel_smallILi512E19rocblas_complex_numIfElPS3_EEvT1_S5_T2_lS5_lPKT0_lS6_lS5_l.has_indirect_call, 0
	.section	.AMDGPU.csdata,"",@progbits
; Kernel info:
; codeLenInByte = 1476
; TotalNumSgprs: 38
; NumVgprs: 36
; NumAgprs: 0
; TotalNumVgprs: 36
; ScratchSize: 0
; MemoryBound: 0
; FloatMode: 240
; IeeeMode: 1
; LDSByteSize: 16448 bytes/workgroup (compile time only)
; SGPRBlocks: 4
; VGPRBlocks: 4
; NumSGPRsForWavesPerEU: 38
; NumVGPRsForWavesPerEU: 36
; AccumOffset: 36
; Occupancy: 8
; WaveLimiterHint : 0
; COMPUTE_PGM_RSRC2:SCRATCH_EN: 0
; COMPUTE_PGM_RSRC2:USER_SGPR: 2
; COMPUTE_PGM_RSRC2:TRAP_HANDLER: 0
; COMPUTE_PGM_RSRC2:TGID_X_EN: 1
; COMPUTE_PGM_RSRC2:TGID_Y_EN: 1
; COMPUTE_PGM_RSRC2:TGID_Z_EN: 0
; COMPUTE_PGM_RSRC2:TIDIG_COMP_CNT: 0
; COMPUTE_PGM_RSRC3_GFX90A:ACCUM_OFFSET: 8
; COMPUTE_PGM_RSRC3_GFX90A:TG_SPLIT: 0
	.section	.text._ZN9rocsolver6v33100L23larf_right_kernel_smallILi1024E19rocblas_complex_numIfElPS3_EEvT1_S5_T2_lS5_lPKT0_lS6_lS5_l,"axG",@progbits,_ZN9rocsolver6v33100L23larf_right_kernel_smallILi1024E19rocblas_complex_numIfElPS3_EEvT1_S5_T2_lS5_lPKT0_lS6_lS5_l,comdat
	.globl	_ZN9rocsolver6v33100L23larf_right_kernel_smallILi1024E19rocblas_complex_numIfElPS3_EEvT1_S5_T2_lS5_lPKT0_lS6_lS5_l ; -- Begin function _ZN9rocsolver6v33100L23larf_right_kernel_smallILi1024E19rocblas_complex_numIfElPS3_EEvT1_S5_T2_lS5_lPKT0_lS6_lS5_l
	.p2align	8
	.type	_ZN9rocsolver6v33100L23larf_right_kernel_smallILi1024E19rocblas_complex_numIfElPS3_EEvT1_S5_T2_lS5_lPKT0_lS6_lS5_l,@function
_ZN9rocsolver6v33100L23larf_right_kernel_smallILi1024E19rocblas_complex_numIfElPS3_EEvT1_S5_T2_lS5_lPKT0_lS6_lS5_l: ; @_ZN9rocsolver6v33100L23larf_right_kernel_smallILi1024E19rocblas_complex_numIfElPS3_EEvT1_S5_T2_lS5_lPKT0_lS6_lS5_l
; %bb.0:
	s_load_dwordx16 s[12:27], s[0:1], 0x0
	s_mov_b32 s10, s3
	s_mov_b64 s[6:7], 0
	s_waitcnt lgkmcnt(0)
	v_cmp_gt_i64_e64 s[4:5], s[20:21], 0
	s_and_b64 vcc, exec, s[4:5]
	s_cbranch_vccnz .LBB29_2
; %bb.1:
	s_sub_u32 s3, 1, s14
	s_subb_u32 s4, 0, s15
	s_mul_i32 s4, s20, s4
	s_mul_hi_u32 s5, s20, s3
	s_add_i32 s4, s5, s4
	s_mul_i32 s5, s21, s3
	s_add_i32 s7, s4, s5
	s_mul_i32 s6, s20, s3
.LBB29_2:
	v_mov_b32_e32 v1, 0
	v_cmp_gt_i64_e64 s[8:9], s[14:15], v[0:1]
	v_lshlrev_b32_e32 v16, 3, v0
	s_and_saveexec_b64 s[4:5], s[8:9]
	s_cbranch_execz .LBB29_5
; %bb.3:
	s_mul_i32 s3, s23, s2
	s_mul_hi_u32 s11, s22, s2
	s_add_i32 s23, s11, s3
	s_mul_i32 s22, s22, s2
	s_lshl_b64 s[22:23], s[22:23], 3
	s_lshl_b64 s[6:7], s[6:7], 3
	;; [unrolled: 1-line block ×3, first 2 shown]
	s_add_u32 s3, s16, s18
	s_addc_u32 s11, s17, s19
	v_mad_u64_u32 v[2:3], s[28:29], s20, v0, 0
	s_add_u32 s3, s3, s6
	v_mov_b32_e32 v4, v3
	s_addc_u32 s7, s11, s7
	v_mad_u64_u32 v[4:5], s[28:29], s21, v0, v[4:5]
	s_add_u32 s6, s3, s22
	v_mov_b32_e32 v3, v4
	s_addc_u32 s7, s7, s23
	v_lshl_add_u64 v[2:3], v[2:3], 3, s[6:7]
	s_lshl_b64 s[6:7], s[20:21], 13
	v_lshlrev_b32_e32 v6, 3, v0
	s_mov_b64 s[16:17], 0
	s_mov_b64 s[18:19], 0x400
	v_mov_b64_e32 v[4:5], v[0:1]
.LBB29_4:                               ; =>This Inner Loop Header: Depth=1
	global_load_dwordx2 v[8:9], v[2:3], off
	v_lshl_add_u64 v[4:5], v[4:5], 0, s[18:19]
	v_cmp_le_i64_e32 vcc, s[14:15], v[4:5]
	v_lshl_add_u64 v[2:3], v[2:3], 0, s[6:7]
	s_or_b64 s[16:17], vcc, s[16:17]
	s_waitcnt vmcnt(0)
	ds_write_b64 v6, v[8:9]
	v_add_u32_e32 v6, 0x2000, v6
	s_andn2_b64 exec, exec, s[16:17]
	s_cbranch_execnz .LBB29_4
.LBB29_5:
	s_or_b64 exec, exec, s[4:5]
	s_mov_b32 s11, 0
	v_mov_b64_e32 v[2:3], s[10:11]
	v_cmp_le_i64_e32 vcc, s[12:13], v[2:3]
	s_waitcnt lgkmcnt(0)
	s_barrier
	s_cbranch_vccnz .LBB29_25
; %bb.6:
	s_load_dwordx8 s[16:23], s[0:1], 0x40
	s_mul_i32 s3, s27, s2
	v_and_b32_e32 v2, 63, v0
	v_lshrrev_b32_e32 v6, 3, v0
	v_cmp_eq_u32_e64 s[6:7], 0, v0
	s_waitcnt lgkmcnt(0)
	s_mul_i32 s1, s23, s2
	s_mul_hi_u32 s4, s22, s2
	s_mul_i32 s0, s22, s2
	s_add_i32 s1, s4, s1
	s_lshl_b64 s[22:23], s[0:1], 3
	s_add_u32 s0, s16, s22
	s_addc_u32 s1, s17, s23
	s_lshl_b64 s[34:35], s[18:19], 3
	s_add_u32 s28, s0, s34
	s_mul_hi_u32 s0, s26, s2
	s_addc_u32 s29, s1, s35
	s_add_i32 s1, s0, s3
	s_mul_i32 s0, s26, s2
	s_lshl_b64 s[0:1], s[0:1], 3
	s_add_u32 s0, s24, s0
	s_addc_u32 s1, s25, s1
	v_cmp_eq_u32_e64 s[4:5], 0, v2
	v_mad_u64_u32 v[2:3], s[24:25], s20, v0, 0
	v_mov_b32_e32 v4, v3
	s_cmp_gt_i32 s14, 1
	v_mad_u64_u32 v[4:5], s[24:25], s21, v0, v[4:5]
	s_cselect_b64 s[18:19], -1, 0
	s_lshl_b32 s30, s20, 10
	s_lshl_b64 s[24:25], s[10:11], 3
	s_add_u32 s16, s16, s24
	s_addc_u32 s17, s17, s25
	s_add_u32 s16, s16, s34
	s_addc_u32 s17, s17, s35
	s_add_u32 s16, s16, s22
	v_mbcnt_lo_u32_b32 v5, -1, 0
	v_mov_b32_e32 v3, v4
	s_addc_u32 s17, s17, s23
	v_mbcnt_hi_u32_b32 v18, -1, v5
	v_mov_b32_e32 v5, 0x80
	v_cmp_gt_i32_e64 s[2:3], s14, v0
	v_mul_lo_u32 v17, v0, s20
	v_lshl_add_u64 v[2:3], v[2:3], 3, s[16:17]
	s_lshl_b64 s[16:17], s[20:21], 13
	v_mov_b32_e32 v4, 0
	v_and_b32_e32 v19, 63, v18
	v_or_b32_e32 v20, 0x4000, v6
	v_mov_b32_e32 v21, 0x4008
	v_mov_b32_e32 v22, 0x4018
	;; [unrolled: 1-line block ×7, first 2 shown]
	s_mov_b64 s[20:21], 0x400
	s_mov_b64 s[22:23], 0x200
	v_lshl_or_b32 v28, v18, 2, v5
	v_mov_b64_e32 v[6:7], s[12:13]
	s_branch .LBB29_8
.LBB29_7:                               ;   in Loop: Header=BB29_8 Depth=1
	s_or_b64 exec, exec, s[12:13]
	s_add_u32 s10, s10, 64
	s_addc_u32 s11, s11, 0
	v_cmp_ge_i64_e32 vcc, s[10:11], v[6:7]
	v_lshl_add_u64 v[2:3], v[2:3], 0, s[22:23]
	s_cbranch_vccnz .LBB29_25
.LBB29_8:                               ; =>This Loop Header: Depth=1
                                        ;     Child Loop BB29_10 Depth 2
                                        ;     Child Loop BB29_24 Depth 2
	v_mov_b32_e32 v5, v4
	v_mov_b64_e32 v[8:9], v[4:5]
	s_and_saveexec_b64 s[12:13], s[2:3]
	s_cbranch_execz .LBB29_12
; %bb.9:                                ;   in Loop: Header=BB29_8 Depth=1
	s_lshl_b64 s[24:25], s[10:11], 3
	s_add_u32 s24, s28, s24
	v_mov_b32_e32 v8, 0
	s_addc_u32 s25, s29, s25
	s_mov_b64 s[26:27], 0
	v_mov_b32_e32 v10, v17
	v_mov_b32_e32 v5, v16
	;; [unrolled: 1-line block ×4, first 2 shown]
.LBB29_10:                              ;   Parent Loop BB29_8 Depth=1
                                        ; =>  This Inner Loop Header: Depth=2
	v_ashrrev_i32_e32 v11, 31, v10
	v_lshl_add_u64 v[14:15], v[10:11], 3, s[24:25]
	global_load_dwordx2 v[14:15], v[14:15], off
	ds_read_b64 v[30:31], v5
	v_add_u32_e32 v12, 0x400, v12
	v_cmp_le_i32_e32 vcc, s14, v12
	v_add_u32_e32 v5, 0x2000, v5
	v_add_u32_e32 v10, s30, v10
	s_or_b64 s[26:27], vcc, s[26:27]
	s_waitcnt vmcnt(0) lgkmcnt(0)
	v_pk_mul_f32 v[32:33], v[14:15], v[30:31] op_sel:[1,1] op_sel_hi:[0,1]
	v_pk_fma_f32 v[34:35], v[14:15], v[30:31], v[32:33] neg_lo:[0,0,1] neg_hi:[0,0,1]
	v_pk_fma_f32 v[14:15], v[14:15], v[30:31], v[32:33] op_sel_hi:[1,0,1]
	s_nop 0
	v_mov_b32_e32 v35, v15
	v_pk_add_f32 v[8:9], v[8:9], v[34:35]
	s_andn2_b64 exec, exec, s[26:27]
	s_cbranch_execnz .LBB29_10
; %bb.11:                               ;   in Loop: Header=BB29_8 Depth=1
	s_or_b64 exec, exec, s[26:27]
.LBB29_12:                              ;   in Loop: Header=BB29_8 Depth=1
	s_or_b64 exec, exec, s[12:13]
	s_and_b64 vcc, exec, s[18:19]
	s_cbranch_vccz .LBB29_19
; %bb.13:                               ;   in Loop: Header=BB29_8 Depth=1
	v_cmp_ne_u32_e32 vcc, 63, v19
	s_nop 1
	v_addc_co_u32_e32 v5, vcc, 0, v18, vcc
	v_lshlrev_b32_e32 v5, 2, v5
	ds_bpermute_b32 v10, v5, v8
	ds_bpermute_b32 v11, v5, v9
	v_cmp_gt_u32_e32 vcc, 62, v19
	s_waitcnt lgkmcnt(0)
	v_pk_add_f32 v[10:11], v[8:9], v[10:11]
	v_cndmask_b32_e64 v5, 0, 2, vcc
	v_add_lshl_u32 v5, v5, v18, 2
	ds_bpermute_b32 v12, v5, v10
	ds_bpermute_b32 v13, v5, v11
	v_cmp_gt_u32_e32 vcc, 60, v19
	s_waitcnt lgkmcnt(0)
	v_pk_add_f32 v[10:11], v[10:11], v[12:13]
	v_cndmask_b32_e64 v5, 0, 4, vcc
	v_add_lshl_u32 v5, v5, v18, 2
	;; [unrolled: 7-line block ×4, first 2 shown]
	ds_bpermute_b32 v12, v5, v10
	ds_bpermute_b32 v13, v5, v11
	s_waitcnt lgkmcnt(0)
	v_pk_add_f32 v[10:11], v[10:11], v[12:13]
	ds_bpermute_b32 v12, v28, v10
	ds_bpermute_b32 v13, v28, v11
	s_waitcnt lgkmcnt(0)
	v_pk_add_f32 v[10:11], v[10:11], v[12:13]
	s_and_saveexec_b64 s[12:13], s[4:5]
; %bb.14:                               ;   in Loop: Header=BB29_8 Depth=1
	ds_write2_b32 v20, v10, v11 offset1:1
; %bb.15:                               ;   in Loop: Header=BB29_8 Depth=1
	s_or_b64 exec, exec, s[12:13]
	s_mov_b64 s[24:25], 0
	s_mov_b64 s[12:13], 0
	s_waitcnt lgkmcnt(0)
	s_barrier
                                        ; implicit-def: $vgpr12_vgpr13
	s_and_saveexec_b64 s[26:27], s[6:7]
	s_xor_b64 s[26:27], exec, s[26:27]
	s_cbranch_execz .LBB29_17
; %bb.16:                               ;   in Loop: Header=BB29_8 Depth=1
	ds_read2_b64 v[12:15], v21 offset1:1
	ds_read2_b64 v[30:33], v22 offset1:1
	;; [unrolled: 1-line block ×3, first 2 shown]
	ds_read_b64 v[38:39], v4 offset:16504
	s_mov_b64 s[12:13], exec
	s_waitcnt lgkmcnt(3)
	v_pk_add_f32 v[10:11], v[10:11], v[12:13]
	s_nop 0
	v_pk_add_f32 v[10:11], v[10:11], v[14:15]
	s_waitcnt lgkmcnt(2)
	v_pk_add_f32 v[14:15], v[10:11], v[30:31]
	ds_read2_b64 v[10:13], v24 offset1:1
	v_pk_add_f32 v[14:15], v[14:15], v[32:33]
	ds_read2_b64 v[30:33], v25 offset1:1
	s_waitcnt lgkmcnt(3)
	v_pk_add_f32 v[14:15], v[14:15], v[34:35]
	s_nop 0
	v_pk_add_f32 v[14:15], v[14:15], v[36:37]
	ds_read2_b64 v[34:37], v26 offset1:1
	s_waitcnt lgkmcnt(2)
	v_pk_add_f32 v[10:11], v[14:15], v[10:11]
	s_nop 0
	;; [unrolled: 5-line block ×3, first 2 shown]
	v_pk_add_f32 v[14:15], v[14:15], v[32:33]
	s_waitcnt lgkmcnt(1)
	v_pk_add_f32 v[14:15], v[14:15], v[34:35]
	s_nop 0
	v_pk_add_f32 v[14:15], v[14:15], v[36:37]
	s_waitcnt lgkmcnt(0)
	v_pk_add_f32 v[10:11], v[14:15], v[10:11]
	s_nop 0
	v_pk_add_f32 v[10:11], v[10:11], v[12:13]
	s_nop 0
	v_pk_add_f32 v[12:13], v[10:11], v[38:39]
.LBB29_17:                              ;   in Loop: Header=BB29_8 Depth=1
	s_or_b64 exec, exec, s[26:27]
	s_and_b64 vcc, exec, s[24:25]
	s_cbranch_vccnz .LBB29_20
.LBB29_18:                              ;   in Loop: Header=BB29_8 Depth=1
	v_mov_b64_e32 v[8:9], v[12:13]
	s_and_saveexec_b64 s[24:25], s[12:13]
	s_cbranch_execnz .LBB29_21
	s_branch .LBB29_22
.LBB29_19:                              ;   in Loop: Header=BB29_8 Depth=1
	s_mov_b64 s[12:13], 0
                                        ; implicit-def: $vgpr12_vgpr13
	s_cbranch_execz .LBB29_18
.LBB29_20:                              ;   in Loop: Header=BB29_8 Depth=1
	s_andn2_b64 s[12:13], s[12:13], exec
	s_and_b64 s[24:25], s[6:7], exec
	s_or_b64 s[12:13], s[12:13], s[24:25]
	s_and_saveexec_b64 s[24:25], s[12:13]
.LBB29_21:                              ;   in Loop: Header=BB29_8 Depth=1
	ds_write_b64 v4, v[8:9] offset:16384
.LBB29_22:                              ;   in Loop: Header=BB29_8 Depth=1
	s_or_b64 exec, exec, s[24:25]
	s_waitcnt lgkmcnt(0)
	s_barrier
	s_and_saveexec_b64 s[12:13], s[8:9]
	s_cbranch_execz .LBB29_7
; %bb.23:                               ;   in Loop: Header=BB29_8 Depth=1
	global_load_dwordx2 v[10:11], v4, s[0:1]
	ds_read_b64 v[12:13], v4 offset:16384
	s_mov_b64 s[24:25], 0
	v_mov_b32_e32 v5, v16
	v_mov_b64_e32 v[8:9], v[2:3]
	s_waitcnt vmcnt(0) lgkmcnt(0)
	v_mul_f32_e32 v14, v10, v12
	v_mul_f32_e32 v15, v10, v13
	v_fma_f32 v10, v11, v13, -v14
	v_fma_f32 v12, v12, -v11, -v15
	v_mov_b32_e32 v13, v12
	v_mov_b32_e32 v11, v10
	v_mov_b64_e32 v[14:15], v[0:1]
.LBB29_24:                              ;   Parent Loop BB29_8 Depth=1
                                        ; =>  This Inner Loop Header: Depth=2
	global_load_dwordx2 v[30:31], v[8:9], off
	ds_read_b64 v[32:33], v5
	v_lshl_add_u64 v[14:15], v[14:15], 0, s[20:21]
	v_cmp_le_i64_e32 vcc, s[14:15], v[14:15]
	s_or_b64 s[24:25], vcc, s[24:25]
	v_add_u32_e32 v5, 0x2000, v5
	s_waitcnt lgkmcnt(0)
	v_pk_mul_f32 v[34:35], v[10:11], v[32:33]
	s_nop 0
	v_pk_fma_f32 v[36:37], v[12:13], v[32:33], v[34:35] op_sel:[0,1,0] op_sel_hi:[1,0,1]
	v_pk_fma_f32 v[32:33], v[12:13], v[32:33], v[34:35] op_sel:[0,1,0] op_sel_hi:[1,0,1] neg_lo:[0,0,1] neg_hi:[0,0,1]
	s_nop 0
	v_mov_b32_e32 v37, v33
	s_waitcnt vmcnt(0)
	v_pk_add_f32 v[30:31], v[30:31], v[36:37]
	global_store_dwordx2 v[8:9], v[30:31], off
	v_lshl_add_u64 v[8:9], v[8:9], 0, s[16:17]
	s_andn2_b64 exec, exec, s[24:25]
	s_cbranch_execnz .LBB29_24
	s_branch .LBB29_7
.LBB29_25:
	s_endpgm
	.section	.rodata,"a",@progbits
	.p2align	6, 0x0
	.amdhsa_kernel _ZN9rocsolver6v33100L23larf_right_kernel_smallILi1024E19rocblas_complex_numIfElPS3_EEvT1_S5_T2_lS5_lPKT0_lS6_lS5_l
		.amdhsa_group_segment_fixed_size 16512
		.amdhsa_private_segment_fixed_size 0
		.amdhsa_kernarg_size 96
		.amdhsa_user_sgpr_count 2
		.amdhsa_user_sgpr_dispatch_ptr 0
		.amdhsa_user_sgpr_queue_ptr 0
		.amdhsa_user_sgpr_kernarg_segment_ptr 1
		.amdhsa_user_sgpr_dispatch_id 0
		.amdhsa_user_sgpr_kernarg_preload_length 0
		.amdhsa_user_sgpr_kernarg_preload_offset 0
		.amdhsa_user_sgpr_private_segment_size 0
		.amdhsa_uses_dynamic_stack 0
		.amdhsa_enable_private_segment 0
		.amdhsa_system_sgpr_workgroup_id_x 1
		.amdhsa_system_sgpr_workgroup_id_y 1
		.amdhsa_system_sgpr_workgroup_id_z 0
		.amdhsa_system_sgpr_workgroup_info 0
		.amdhsa_system_vgpr_workitem_id 0
		.amdhsa_next_free_vgpr 40
		.amdhsa_next_free_sgpr 36
		.amdhsa_accum_offset 40
		.amdhsa_reserve_vcc 1
		.amdhsa_float_round_mode_32 0
		.amdhsa_float_round_mode_16_64 0
		.amdhsa_float_denorm_mode_32 3
		.amdhsa_float_denorm_mode_16_64 3
		.amdhsa_dx10_clamp 1
		.amdhsa_ieee_mode 1
		.amdhsa_fp16_overflow 0
		.amdhsa_tg_split 0
		.amdhsa_exception_fp_ieee_invalid_op 0
		.amdhsa_exception_fp_denorm_src 0
		.amdhsa_exception_fp_ieee_div_zero 0
		.amdhsa_exception_fp_ieee_overflow 0
		.amdhsa_exception_fp_ieee_underflow 0
		.amdhsa_exception_fp_ieee_inexact 0
		.amdhsa_exception_int_div_zero 0
	.end_amdhsa_kernel
	.section	.text._ZN9rocsolver6v33100L23larf_right_kernel_smallILi1024E19rocblas_complex_numIfElPS3_EEvT1_S5_T2_lS5_lPKT0_lS6_lS5_l,"axG",@progbits,_ZN9rocsolver6v33100L23larf_right_kernel_smallILi1024E19rocblas_complex_numIfElPS3_EEvT1_S5_T2_lS5_lPKT0_lS6_lS5_l,comdat
.Lfunc_end29:
	.size	_ZN9rocsolver6v33100L23larf_right_kernel_smallILi1024E19rocblas_complex_numIfElPS3_EEvT1_S5_T2_lS5_lPKT0_lS6_lS5_l, .Lfunc_end29-_ZN9rocsolver6v33100L23larf_right_kernel_smallILi1024E19rocblas_complex_numIfElPS3_EEvT1_S5_T2_lS5_lPKT0_lS6_lS5_l
                                        ; -- End function
	.set _ZN9rocsolver6v33100L23larf_right_kernel_smallILi1024E19rocblas_complex_numIfElPS3_EEvT1_S5_T2_lS5_lPKT0_lS6_lS5_l.num_vgpr, 40
	.set _ZN9rocsolver6v33100L23larf_right_kernel_smallILi1024E19rocblas_complex_numIfElPS3_EEvT1_S5_T2_lS5_lPKT0_lS6_lS5_l.num_agpr, 0
	.set _ZN9rocsolver6v33100L23larf_right_kernel_smallILi1024E19rocblas_complex_numIfElPS3_EEvT1_S5_T2_lS5_lPKT0_lS6_lS5_l.numbered_sgpr, 36
	.set _ZN9rocsolver6v33100L23larf_right_kernel_smallILi1024E19rocblas_complex_numIfElPS3_EEvT1_S5_T2_lS5_lPKT0_lS6_lS5_l.num_named_barrier, 0
	.set _ZN9rocsolver6v33100L23larf_right_kernel_smallILi1024E19rocblas_complex_numIfElPS3_EEvT1_S5_T2_lS5_lPKT0_lS6_lS5_l.private_seg_size, 0
	.set _ZN9rocsolver6v33100L23larf_right_kernel_smallILi1024E19rocblas_complex_numIfElPS3_EEvT1_S5_T2_lS5_lPKT0_lS6_lS5_l.uses_vcc, 1
	.set _ZN9rocsolver6v33100L23larf_right_kernel_smallILi1024E19rocblas_complex_numIfElPS3_EEvT1_S5_T2_lS5_lPKT0_lS6_lS5_l.uses_flat_scratch, 0
	.set _ZN9rocsolver6v33100L23larf_right_kernel_smallILi1024E19rocblas_complex_numIfElPS3_EEvT1_S5_T2_lS5_lPKT0_lS6_lS5_l.has_dyn_sized_stack, 0
	.set _ZN9rocsolver6v33100L23larf_right_kernel_smallILi1024E19rocblas_complex_numIfElPS3_EEvT1_S5_T2_lS5_lPKT0_lS6_lS5_l.has_recursion, 0
	.set _ZN9rocsolver6v33100L23larf_right_kernel_smallILi1024E19rocblas_complex_numIfElPS3_EEvT1_S5_T2_lS5_lPKT0_lS6_lS5_l.has_indirect_call, 0
	.section	.AMDGPU.csdata,"",@progbits
; Kernel info:
; codeLenInByte = 1640
; TotalNumSgprs: 42
; NumVgprs: 40
; NumAgprs: 0
; TotalNumVgprs: 40
; ScratchSize: 0
; MemoryBound: 0
; FloatMode: 240
; IeeeMode: 1
; LDSByteSize: 16512 bytes/workgroup (compile time only)
; SGPRBlocks: 5
; VGPRBlocks: 4
; NumSGPRsForWavesPerEU: 42
; NumVGPRsForWavesPerEU: 40
; AccumOffset: 40
; Occupancy: 8
; WaveLimiterHint : 0
; COMPUTE_PGM_RSRC2:SCRATCH_EN: 0
; COMPUTE_PGM_RSRC2:USER_SGPR: 2
; COMPUTE_PGM_RSRC2:TRAP_HANDLER: 0
; COMPUTE_PGM_RSRC2:TGID_X_EN: 1
; COMPUTE_PGM_RSRC2:TGID_Y_EN: 1
; COMPUTE_PGM_RSRC2:TGID_Z_EN: 0
; COMPUTE_PGM_RSRC2:TIDIG_COMP_CNT: 0
; COMPUTE_PGM_RSRC3_GFX90A:ACCUM_OFFSET: 9
; COMPUTE_PGM_RSRC3_GFX90A:TG_SPLIT: 0
	.section	.text._ZN9rocsolver6v33100L22larf_left_kernel_smallILi64E19rocblas_complex_numIfElPKPS3_EEvT1_S7_T2_lS7_lPKT0_lS8_lS7_l,"axG",@progbits,_ZN9rocsolver6v33100L22larf_left_kernel_smallILi64E19rocblas_complex_numIfElPKPS3_EEvT1_S7_T2_lS7_lPKT0_lS8_lS7_l,comdat
	.globl	_ZN9rocsolver6v33100L22larf_left_kernel_smallILi64E19rocblas_complex_numIfElPKPS3_EEvT1_S7_T2_lS7_lPKT0_lS8_lS7_l ; -- Begin function _ZN9rocsolver6v33100L22larf_left_kernel_smallILi64E19rocblas_complex_numIfElPKPS3_EEvT1_S7_T2_lS7_lPKT0_lS8_lS7_l
	.p2align	8
	.type	_ZN9rocsolver6v33100L22larf_left_kernel_smallILi64E19rocblas_complex_numIfElPKPS3_EEvT1_S7_T2_lS7_lPKT0_lS8_lS7_l,@function
_ZN9rocsolver6v33100L22larf_left_kernel_smallILi64E19rocblas_complex_numIfElPKPS3_EEvT1_S7_T2_lS7_lPKT0_lS8_lS7_l: ; @_ZN9rocsolver6v33100L22larf_left_kernel_smallILi64E19rocblas_complex_numIfElPKPS3_EEvT1_S7_T2_lS7_lPKT0_lS8_lS7_l
; %bb.0:
	s_mov_b32 s24, s3
	s_load_dwordx8 s[8:15], s[0:1], 0x0
	s_load_dwordx2 s[6:7], s[0:1], 0x20
	s_load_dwordx8 s[16:23], s[0:1], 0x30
	s_load_dwordx2 s[4:5], s[0:1], 0x50
	s_mov_b32 s3, 0
	s_lshl_b64 s[0:1], s[2:3], 3
	s_waitcnt lgkmcnt(0)
	s_add_u32 s28, s12, s0
	s_addc_u32 s29, s13, s1
	s_add_u32 s0, s20, s0
	v_cmp_gt_i64_e64 s[12:13], s[6:7], 0
	s_addc_u32 s1, s21, s1
	s_mov_b64 s[20:21], 0
	s_and_b64 vcc, exec, s[12:13]
	s_cbranch_vccnz .LBB30_2
; %bb.1:
	s_sub_u32 s3, 1, s8
	s_subb_u32 s12, 0, s9
	s_mul_i32 s12, s6, s12
	s_mul_hi_u32 s13, s6, s3
	s_add_i32 s12, s13, s12
	s_mul_i32 s13, s7, s3
	s_add_i32 s21, s12, s13
	s_mul_i32 s20, s6, s3
.LBB30_2:
	s_load_dwordx2 s[26:27], s[0:1], 0x0
	v_mov_b32_e32 v1, 0
	v_cmp_gt_i64_e64 s[0:1], s[8:9], v[0:1]
	v_lshlrev_b32_e32 v36, 3, v0
	s_and_saveexec_b64 s[12:13], s[0:1]
	s_cbranch_execz .LBB30_5
; %bb.3:
	s_load_dwordx2 s[28:29], s[28:29], 0x0
	s_lshl_b64 s[20:21], s[20:21], 3
	s_lshl_b64 s[14:15], s[14:15], 3
	v_mad_u64_u32 v[2:3], s[30:31], s6, v0, 0
	s_waitcnt lgkmcnt(0)
	s_add_u32 s3, s28, s14
	v_mov_b32_e32 v4, v3
	s_addc_u32 s15, s29, s15
	v_mad_u64_u32 v[4:5], s[30:31], s7, v0, v[4:5]
	s_add_u32 s14, s3, s20
	v_mov_b32_e32 v3, v4
	s_addc_u32 s15, s15, s21
	v_lshl_add_u64 v[2:3], v[2:3], 3, s[14:15]
	s_lshl_b64 s[6:7], s[6:7], 9
	v_lshlrev_b32_e32 v6, 3, v0
	s_mov_b64 s[14:15], 0
	v_mov_b64_e32 v[4:5], v[0:1]
.LBB30_4:                               ; =>This Inner Loop Header: Depth=1
	flat_load_dwordx2 v[8:9], v[2:3]
	v_lshl_add_u64 v[4:5], v[4:5], 0, 64
	v_cmp_le_i64_e32 vcc, s[8:9], v[4:5]
	v_lshl_add_u64 v[2:3], v[2:3], 0, s[6:7]
	s_or_b64 s[14:15], vcc, s[14:15]
	s_waitcnt vmcnt(0) lgkmcnt(0)
	ds_write_b64 v6, v[8:9]
	v_add_u32_e32 v6, 0x200, v6
	s_andn2_b64 exec, exec, s[14:15]
	s_cbranch_execnz .LBB30_4
.LBB30_5:
	s_or_b64 exec, exec, s[12:13]
	s_mov_b32 s25, 0
	v_mov_b64_e32 v[2:3], s[24:25]
	v_cmp_le_i64_e32 vcc, s[10:11], v[2:3]
	s_waitcnt lgkmcnt(0)
	; wave barrier
	s_cbranch_vccnz .LBB30_32
; %bb.6:
	s_mul_i32 s3, s19, s2
	s_mul_hi_u32 s6, s18, s2
	s_add_i32 s3, s6, s3
	s_mul_i32 s2, s18, s2
	s_lshl_b64 s[2:3], s[2:3], 3
	s_add_u32 s12, s16, s2
	s_addc_u32 s13, s17, s3
	s_cmp_gt_i32 s8, 1
	s_mul_i32 s6, s5, s24
	s_mul_hi_u32 s7, s4, s24
	s_cselect_b64 s[14:15], -1, 0
	v_mov_b32_e32 v3, -1
	v_not_b32_e32 v2, v0
	s_add_i32 s29, s7, s6
	s_mul_i32 s28, s4, s24
	v_lshl_add_u64 v[2:3], s[8:9], 0, v[2:3]
	s_add_u32 s6, s28, s22
	s_addc_u32 s7, s29, s23
	s_lshl_b64 s[18:19], s[4:5], 9
	v_lshrrev_b64 v[6:7], 6, v[2:3]
	s_lshl_b64 s[28:29], s[28:29], 3
	s_lshl_b64 s[22:23], s[22:23], 3
	v_lshl_add_u64 v[4:5], s[6:7], 0, v[0:1]
	v_lshl_add_u64 v[6:7], v[6:7], 0, 1
	s_mov_b32 s6, -1
	s_add_u32 s22, s28, s22
	s_brev_b32 s7, -8
	v_and_b32_e32 v14, -2, v6
	v_mov_b32_e32 v15, v7
	s_addc_u32 s23, s29, s23
	s_mov_b64 s[4:5], 0xc0
	v_cmp_lt_u64_e32 vcc, s[6:7], v[2:3]
	v_lshlrev_b64 v[16:17], 6, v[14:15]
	v_mov_b32_e32 v18, 0
	v_cmp_ne_u64_e64 s[6:7], v[6:7], v[14:15]
	s_add_u32 s22, s26, s22
	v_mbcnt_lo_u32_b32 v6, -1, 0
	v_lshrrev_b32_e32 v8, 3, v0
	v_cmp_gt_u64_e64 s[20:21], s[4:5], v[2:3]
	s_mov_b64 s[4:5], 0xbf
	v_lshlrev_b64 v[12:13], 3, v[2:3]
	v_or_b32_e32 v16, v16, v0
	v_lshlrev_b32_e32 v20, 3, v0
	v_mov_b32_e32 v21, v18
	s_addc_u32 s23, s27, s23
	v_mbcnt_hi_u32_b32 v37, -1, v6
	v_mov_b32_e32 v6, 0x80
	v_cmp_gt_i32_e64 s[2:3], s8, v0
	v_cmp_eq_u32_e64 s[16:17], 0, v0
	v_lshl_add_u64 v[10:11], v[4:5], 3, s[26:27]
	v_cmp_lt_u64_e64 s[4:5], s[4:5], v[2:3]
	v_and_b32_e32 v12, 0xfffffe00, v12
	v_or_b32_e32 v4, 64, v0
	v_mov_b32_e32 v2, v0
	v_mov_b32_e32 v3, v18
	;; [unrolled: 1-line block ×3, first 2 shown]
	v_lshl_add_u64 v[22:23], s[22:23], 0, v[20:21]
	s_mov_b64 s[26:27], 0
	s_mov_b64 s[28:29], 0x200
	v_and_b32_e32 v38, 63, v37
	v_or_b32_e32 v39, 0x4000, v8
	s_mov_b64 s[30:31], 0x80
	s_mov_b64 s[34:35], 0x400
	v_lshlrev_b64 v[24:25], 3, v[16:17]
	v_mov_b64_e32 v[26:27], s[10:11]
	v_lshl_or_b32 v40, v37, 2, v6
	s_xor_b64 s[10:11], vcc, -1
	s_branch .LBB30_8
.LBB30_7:                               ;   in Loop: Header=BB30_8 Depth=1
	s_or_b64 exec, exec, s[36:37]
	s_add_u32 s24, s24, 64
	s_addc_u32 s25, s25, 0
	s_add_u32 s26, s26, 1
	s_addc_u32 s27, s27, 0
	s_add_u32 s22, s22, s18
	v_cmp_ge_i64_e32 vcc, s[24:25], v[26:27]
	v_lshl_add_u64 v[22:23], v[22:23], 0, s[18:19]
	s_addc_u32 s23, s23, s19
	s_cbranch_vccnz .LBB30_32
.LBB30_8:                               ; =>This Loop Header: Depth=1
                                        ;     Child Loop BB30_10 Depth 2
                                        ;     Child Loop BB30_24 Depth 2
	;; [unrolled: 1-line block ×3, first 2 shown]
	v_mov_b32_e32 v19, v18
	v_mov_b64_e32 v[6:7], v[18:19]
	s_and_saveexec_b64 s[36:37], s[2:3]
	s_cbranch_execz .LBB30_12
; %bb.9:                                ;   in Loop: Header=BB30_8 Depth=1
	v_mov_b32_e32 v6, 0
	s_mov_b64 s[38:39], 0
	v_mov_b64_e32 v[8:9], v[22:23]
	v_mov_b32_e32 v19, v36
	v_mov_b32_e32 v28, v0
	;; [unrolled: 1-line block ×3, first 2 shown]
.LBB30_10:                              ;   Parent Loop BB30_8 Depth=1
                                        ; =>  This Inner Loop Header: Depth=2
	flat_load_dwordx2 v[30:31], v[8:9]
	ds_read_b64 v[32:33], v19
	v_add_u32_e32 v28, 64, v28
	v_cmp_le_i32_e32 vcc, s8, v28
	v_add_u32_e32 v19, 0x200, v19
	v_lshl_add_u64 v[8:9], v[8:9], 0, s[28:29]
	s_waitcnt lgkmcnt(0)
	v_mov_b32_e32 v34, v33
	s_or_b64 s[38:39], vcc, s[38:39]
	s_waitcnt vmcnt(0)
	v_pk_mul_f32 v[42:43], v[30:31], v[32:33] op_sel_hi:[1,0]
	s_nop 0
	v_pk_fma_f32 v[34:35], v[30:31], v[34:35], v[42:43] op_sel:[1,0,0] op_sel_hi:[0,1,1]
	v_pk_fma_f32 v[30:31], v[30:31], v[32:33], v[42:43] op_sel:[1,1,0] op_sel_hi:[0,1,1] neg_lo:[0,0,1] neg_hi:[0,0,1]
	v_mov_b32_e32 v35, v31
	v_pk_add_f32 v[6:7], v[6:7], v[34:35]
	s_andn2_b64 exec, exec, s[38:39]
	s_cbranch_execnz .LBB30_10
; %bb.11:                               ;   in Loop: Header=BB30_8 Depth=1
	s_or_b64 exec, exec, s[38:39]
.LBB30_12:                              ;   in Loop: Header=BB30_8 Depth=1
	s_or_b64 exec, exec, s[36:37]
	s_and_b64 vcc, exec, s[14:15]
	s_cbranch_vccz .LBB30_17
; %bb.13:                               ;   in Loop: Header=BB30_8 Depth=1
	v_cmp_ne_u32_e32 vcc, 63, v38
	s_nop 1
	v_addc_co_u32_e32 v8, vcc, 0, v37, vcc
	v_lshlrev_b32_e32 v9, 2, v8
	ds_bpermute_b32 v8, v9, v6
	ds_bpermute_b32 v9, v9, v7
	v_cmp_gt_u32_e32 vcc, 62, v38
	s_waitcnt lgkmcnt(0)
	v_pk_add_f32 v[8:9], v[6:7], v[8:9]
	v_cndmask_b32_e64 v19, 0, 2, vcc
	v_add_lshl_u32 v19, v19, v37, 2
	ds_bpermute_b32 v28, v19, v8
	ds_bpermute_b32 v29, v19, v9
	v_cmp_gt_u32_e32 vcc, 60, v38
	s_waitcnt lgkmcnt(0)
	v_pk_add_f32 v[8:9], v[8:9], v[28:29]
	v_cndmask_b32_e64 v19, 0, 4, vcc
	v_add_lshl_u32 v19, v19, v37, 2
	ds_bpermute_b32 v28, v19, v8
	ds_bpermute_b32 v29, v19, v9
	v_cmp_gt_u32_e32 vcc, 56, v38
	s_waitcnt lgkmcnt(0)
	v_pk_add_f32 v[8:9], v[8:9], v[28:29]
	v_cndmask_b32_e64 v19, 0, 8, vcc
	v_add_lshl_u32 v19, v19, v37, 2
	ds_bpermute_b32 v28, v19, v8
	ds_bpermute_b32 v29, v19, v9
	v_cmp_gt_u32_e32 vcc, 48, v38
	s_waitcnt lgkmcnt(0)
	v_pk_add_f32 v[8:9], v[8:9], v[28:29]
	v_cndmask_b32_e64 v19, 0, 16, vcc
	v_add_lshl_u32 v19, v19, v37, 2
	ds_bpermute_b32 v28, v19, v8
	ds_bpermute_b32 v29, v19, v9
	s_waitcnt lgkmcnt(0)
	v_pk_add_f32 v[8:9], v[8:9], v[28:29]
	ds_bpermute_b32 v28, v40, v8
	ds_bpermute_b32 v29, v40, v9
	s_waitcnt lgkmcnt(0)
	v_pk_add_f32 v[8:9], v[8:9], v[28:29]
	s_and_saveexec_b64 s[36:37], s[16:17]
; %bb.14:                               ;   in Loop: Header=BB30_8 Depth=1
	ds_write2_b32 v39, v8, v9 offset1:1
; %bb.15:                               ;   in Loop: Header=BB30_8 Depth=1
	s_or_b64 exec, exec, s[36:37]
	s_waitcnt lgkmcnt(0)
	; wave barrier
	s_mov_b64 s[36:37], s[16:17]
.LBB30_16:                              ;   in Loop: Header=BB30_8 Depth=1
	v_mov_b64_e32 v[6:7], v[8:9]
	s_and_saveexec_b64 s[38:39], s[36:37]
	s_cbranch_execnz .LBB30_19
	s_branch .LBB30_20
.LBB30_17:                              ;   in Loop: Header=BB30_8 Depth=1
	s_mov_b64 s[36:37], 0
                                        ; implicit-def: $vgpr8_vgpr9
	s_cbranch_execz .LBB30_16
; %bb.18:                               ;   in Loop: Header=BB30_8 Depth=1
	s_andn2_b64 s[36:37], s[36:37], exec
	s_and_b64 s[38:39], s[16:17], exec
	s_or_b64 s[36:37], s[36:37], s[38:39]
	s_and_saveexec_b64 s[38:39], s[36:37]
.LBB30_19:                              ;   in Loop: Header=BB30_8 Depth=1
	ds_write_b64 v18, v[6:7] offset:16384
.LBB30_20:                              ;   in Loop: Header=BB30_8 Depth=1
	s_or_b64 exec, exec, s[38:39]
	s_waitcnt lgkmcnt(0)
	; wave barrier
	s_and_saveexec_b64 s[36:37], s[0:1]
	s_cbranch_execz .LBB30_7
; %bb.21:                               ;   in Loop: Header=BB30_8 Depth=1
	global_load_dwordx2 v[8:9], v18, s[12:13]
	ds_read_b64 v[28:29], v18 offset:16384
	s_mov_b64 s[40:41], s[20:21]
	v_mov_b64_e32 v[6:7], v[0:1]
	s_waitcnt vmcnt(0) lgkmcnt(0)
	v_mul_f32_e32 v19, v9, v29
	v_mul_f32_e32 v9, v9, v28
	v_fma_f32 v28, v28, -v8, -v19
	v_fma_f32 v30, v8, v29, -v9
	v_mov_b64_e32 v[8:9], v[20:21]
	s_and_saveexec_b64 s[38:39], s[4:5]
	s_cbranch_execz .LBB30_29
; %bb.22:                               ;   in Loop: Header=BB30_8 Depth=1
	s_mul_i32 s33, s19, s26
	s_mul_i32 s40, s18, s27
	v_mov_b32_e32 v6, s26
	s_add_i32 s33, s40, s33
	v_mad_u64_u32 v[6:7], s[40:41], s18, v6, v[10:11]
	v_add_u32_e32 v7, s33, v7
	v_lshl_add_u64 v[8:9], v[6:7], 0, v[12:13]
	v_cmp_ge_u64_e32 vcc, v[8:9], v[6:7]
	s_mov_b64 s[42:43], -1
	s_and_b64 s[44:45], vcc, s[10:11]
	v_mov_b64_e32 v[6:7], v[0:1]
	v_mov_b64_e32 v[8:9], v[20:21]
	s_and_saveexec_b64 s[40:41], s[44:45]
	s_cbranch_execz .LBB30_28
; %bb.23:                               ;   in Loop: Header=BB30_8 Depth=1
	v_mov_b64_e32 v[8:9], v[4:5]
	v_mov_b32_e32 v29, v28
	v_mov_b32_e32 v31, v30
	s_mov_b64 s[42:43], 0
	v_mov_b64_e32 v[32:33], v[14:15]
	v_mov_b64_e32 v[34:35], v[22:23]
	;; [unrolled: 1-line block ×3, first 2 shown]
.LBB30_24:                              ;   Parent Loop BB30_8 Depth=1
                                        ; =>  This Inner Loop Header: Depth=2
	flat_load_dwordx2 v[50:51], v[34:35]
	flat_load_dwordx2 v[42:43], v[34:35] offset:512
	v_lshlrev_b32_e32 v19, 3, v6
	v_lshlrev_b32_e32 v41, 3, v8
	ds_read_b64 v[48:49], v19
	ds_read_b64 v[44:45], v41
	v_lshl_add_u64 v[32:33], v[32:33], 0, -2
	v_cmp_eq_u64_e32 vcc, 0, v[32:33]
	v_lshl_add_u64 v[8:9], v[8:9], 0, s[30:31]
	s_waitcnt lgkmcnt(0)
	v_mov_b32_e32 v46, v48
	v_mov_b32_e32 v47, v44
	;; [unrolled: 1-line block ×3, first 2 shown]
	v_pk_mul_f32 v[48:49], v[30:31], v[44:45]
	v_pk_mul_f32 v[44:45], v[28:29], v[44:45]
	v_pk_fma_f32 v[48:49], v[28:29], v[46:47], v[48:49] neg_lo:[0,0,1] neg_hi:[0,0,1]
	v_pk_fma_f32 v[44:45], v[30:31], v[46:47], v[44:45]
	v_lshl_add_u64 v[6:7], v[6:7], 0, s[30:31]
	s_or_b64 s[42:43], vcc, s[42:43]
	s_waitcnt vmcnt(0)
	v_mov_b32_e32 v46, v50
	v_mov_b32_e32 v47, v42
	;; [unrolled: 1-line block ×3, first 2 shown]
	v_pk_add_f32 v[46:47], v[46:47], v[48:49]
	v_pk_add_f32 v[42:43], v[44:45], v[42:43]
	v_mov_b32_e32 v44, v46
	v_mov_b32_e32 v45, v42
	;; [unrolled: 1-line block ×3, first 2 shown]
	flat_store_dwordx2 v[34:35], v[44:45]
	flat_store_dwordx2 v[34:35], v[42:43] offset:512
	v_lshl_add_u64 v[34:35], v[34:35], 0, s[34:35]
	s_andn2_b64 exec, exec, s[42:43]
	s_cbranch_execnz .LBB30_24
; %bb.25:                               ;   in Loop: Header=BB30_8 Depth=1
	s_or_b64 exec, exec, s[42:43]
	s_mov_b64 s[42:43], 0
	s_and_saveexec_b64 s[44:45], s[6:7]
; %bb.26:                               ;   in Loop: Header=BB30_8 Depth=1
	s_mov_b64 s[42:43], exec
; %bb.27:                               ;   in Loop: Header=BB30_8 Depth=1
	s_or_b64 exec, exec, s[44:45]
	s_orn2_b64 s[42:43], s[42:43], exec
	v_mov_b64_e32 v[6:7], v[16:17]
	v_mov_b64_e32 v[8:9], v[24:25]
.LBB30_28:                              ;   in Loop: Header=BB30_8 Depth=1
	s_or_b64 exec, exec, s[40:41]
	s_andn2_b64 s[40:41], s[20:21], exec
	s_and_b64 s[42:43], s[42:43], exec
	s_or_b64 s[40:41], s[40:41], s[42:43]
.LBB30_29:                              ;   in Loop: Header=BB30_8 Depth=1
	s_or_b64 exec, exec, s[38:39]
	s_and_b64 exec, exec, s[40:41]
	s_cbranch_execz .LBB30_7
; %bb.30:                               ;   in Loop: Header=BB30_8 Depth=1
	v_mov_b32_e32 v31, v30
	v_mov_b32_e32 v29, v28
	v_lshlrev_b32_e32 v19, 3, v6
	v_lshl_add_u64 v[8:9], s[22:23], 0, v[8:9]
	s_mov_b64 s[38:39], 0
.LBB30_31:                              ;   Parent Loop BB30_8 Depth=1
                                        ; =>  This Inner Loop Header: Depth=2
	flat_load_dwordx2 v[32:33], v[8:9]
	ds_read_b64 v[34:35], v19
	v_lshl_add_u64 v[6:7], v[6:7], 0, 64
	v_cmp_le_i64_e32 vcc, s[8:9], v[6:7]
	v_add_u32_e32 v19, 0x200, v19
	s_or_b64 s[38:39], vcc, s[38:39]
	s_waitcnt lgkmcnt(0)
	v_pk_mul_f32 v[42:43], v[30:31], v[34:35] op_sel:[0,1] op_sel_hi:[1,0]
	s_nop 0
	v_pk_fma_f32 v[44:45], v[28:29], v[34:35], v[42:43] neg_lo:[0,0,1] neg_hi:[0,0,1]
	v_pk_fma_f32 v[34:35], v[28:29], v[34:35], v[42:43]
	s_nop 0
	v_mov_b32_e32 v45, v35
	s_waitcnt vmcnt(0)
	v_pk_add_f32 v[32:33], v[32:33], v[44:45]
	flat_store_dwordx2 v[8:9], v[32:33]
	v_lshl_add_u64 v[8:9], v[8:9], 0, s[28:29]
	s_andn2_b64 exec, exec, s[38:39]
	s_cbranch_execnz .LBB30_31
	s_branch .LBB30_7
.LBB30_32:
	s_endpgm
	.section	.rodata,"a",@progbits
	.p2align	6, 0x0
	.amdhsa_kernel _ZN9rocsolver6v33100L22larf_left_kernel_smallILi64E19rocblas_complex_numIfElPKPS3_EEvT1_S7_T2_lS7_lPKT0_lS8_lS7_l
		.amdhsa_group_segment_fixed_size 16896
		.amdhsa_private_segment_fixed_size 0
		.amdhsa_kernarg_size 96
		.amdhsa_user_sgpr_count 2
		.amdhsa_user_sgpr_dispatch_ptr 0
		.amdhsa_user_sgpr_queue_ptr 0
		.amdhsa_user_sgpr_kernarg_segment_ptr 1
		.amdhsa_user_sgpr_dispatch_id 0
		.amdhsa_user_sgpr_kernarg_preload_length 0
		.amdhsa_user_sgpr_kernarg_preload_offset 0
		.amdhsa_user_sgpr_private_segment_size 0
		.amdhsa_uses_dynamic_stack 0
		.amdhsa_enable_private_segment 0
		.amdhsa_system_sgpr_workgroup_id_x 1
		.amdhsa_system_sgpr_workgroup_id_y 1
		.amdhsa_system_sgpr_workgroup_id_z 0
		.amdhsa_system_sgpr_workgroup_info 0
		.amdhsa_system_vgpr_workitem_id 0
		.amdhsa_next_free_vgpr 129
		.amdhsa_next_free_sgpr 96
		.amdhsa_accum_offset 52
		.amdhsa_reserve_vcc 1
		.amdhsa_float_round_mode_32 0
		.amdhsa_float_round_mode_16_64 0
		.amdhsa_float_denorm_mode_32 3
		.amdhsa_float_denorm_mode_16_64 3
		.amdhsa_dx10_clamp 1
		.amdhsa_ieee_mode 1
		.amdhsa_fp16_overflow 0
		.amdhsa_tg_split 0
		.amdhsa_exception_fp_ieee_invalid_op 0
		.amdhsa_exception_fp_denorm_src 0
		.amdhsa_exception_fp_ieee_div_zero 0
		.amdhsa_exception_fp_ieee_overflow 0
		.amdhsa_exception_fp_ieee_underflow 0
		.amdhsa_exception_fp_ieee_inexact 0
		.amdhsa_exception_int_div_zero 0
	.end_amdhsa_kernel
	.section	.text._ZN9rocsolver6v33100L22larf_left_kernel_smallILi64E19rocblas_complex_numIfElPKPS3_EEvT1_S7_T2_lS7_lPKT0_lS8_lS7_l,"axG",@progbits,_ZN9rocsolver6v33100L22larf_left_kernel_smallILi64E19rocblas_complex_numIfElPKPS3_EEvT1_S7_T2_lS7_lPKT0_lS8_lS7_l,comdat
.Lfunc_end30:
	.size	_ZN9rocsolver6v33100L22larf_left_kernel_smallILi64E19rocblas_complex_numIfElPKPS3_EEvT1_S7_T2_lS7_lPKT0_lS8_lS7_l, .Lfunc_end30-_ZN9rocsolver6v33100L22larf_left_kernel_smallILi64E19rocblas_complex_numIfElPKPS3_EEvT1_S7_T2_lS7_lPKT0_lS8_lS7_l
                                        ; -- End function
	.set _ZN9rocsolver6v33100L22larf_left_kernel_smallILi64E19rocblas_complex_numIfElPKPS3_EEvT1_S7_T2_lS7_lPKT0_lS8_lS7_l.num_vgpr, 52
	.set _ZN9rocsolver6v33100L22larf_left_kernel_smallILi64E19rocblas_complex_numIfElPKPS3_EEvT1_S7_T2_lS7_lPKT0_lS8_lS7_l.num_agpr, 0
	.set _ZN9rocsolver6v33100L22larf_left_kernel_smallILi64E19rocblas_complex_numIfElPKPS3_EEvT1_S7_T2_lS7_lPKT0_lS8_lS7_l.numbered_sgpr, 46
	.set _ZN9rocsolver6v33100L22larf_left_kernel_smallILi64E19rocblas_complex_numIfElPKPS3_EEvT1_S7_T2_lS7_lPKT0_lS8_lS7_l.num_named_barrier, 0
	.set _ZN9rocsolver6v33100L22larf_left_kernel_smallILi64E19rocblas_complex_numIfElPKPS3_EEvT1_S7_T2_lS7_lPKT0_lS8_lS7_l.private_seg_size, 0
	.set _ZN9rocsolver6v33100L22larf_left_kernel_smallILi64E19rocblas_complex_numIfElPKPS3_EEvT1_S7_T2_lS7_lPKT0_lS8_lS7_l.uses_vcc, 1
	.set _ZN9rocsolver6v33100L22larf_left_kernel_smallILi64E19rocblas_complex_numIfElPKPS3_EEvT1_S7_T2_lS7_lPKT0_lS8_lS7_l.uses_flat_scratch, 0
	.set _ZN9rocsolver6v33100L22larf_left_kernel_smallILi64E19rocblas_complex_numIfElPKPS3_EEvT1_S7_T2_lS7_lPKT0_lS8_lS7_l.has_dyn_sized_stack, 0
	.set _ZN9rocsolver6v33100L22larf_left_kernel_smallILi64E19rocblas_complex_numIfElPKPS3_EEvT1_S7_T2_lS7_lPKT0_lS8_lS7_l.has_recursion, 0
	.set _ZN9rocsolver6v33100L22larf_left_kernel_smallILi64E19rocblas_complex_numIfElPKPS3_EEvT1_S7_T2_lS7_lPKT0_lS8_lS7_l.has_indirect_call, 0
	.section	.AMDGPU.csdata,"",@progbits
; Kernel info:
; codeLenInByte = 1804
; TotalNumSgprs: 52
; NumVgprs: 52
; NumAgprs: 0
; TotalNumVgprs: 52
; ScratchSize: 0
; MemoryBound: 0
; FloatMode: 240
; IeeeMode: 1
; LDSByteSize: 16896 bytes/workgroup (compile time only)
; SGPRBlocks: 12
; VGPRBlocks: 16
; NumSGPRsForWavesPerEU: 102
; NumVGPRsForWavesPerEU: 129
; AccumOffset: 52
; Occupancy: 3
; WaveLimiterHint : 1
; COMPUTE_PGM_RSRC2:SCRATCH_EN: 0
; COMPUTE_PGM_RSRC2:USER_SGPR: 2
; COMPUTE_PGM_RSRC2:TRAP_HANDLER: 0
; COMPUTE_PGM_RSRC2:TGID_X_EN: 1
; COMPUTE_PGM_RSRC2:TGID_Y_EN: 1
; COMPUTE_PGM_RSRC2:TGID_Z_EN: 0
; COMPUTE_PGM_RSRC2:TIDIG_COMP_CNT: 0
; COMPUTE_PGM_RSRC3_GFX90A:ACCUM_OFFSET: 12
; COMPUTE_PGM_RSRC3_GFX90A:TG_SPLIT: 0
	.section	.text._ZN9rocsolver6v33100L22larf_left_kernel_smallILi128E19rocblas_complex_numIfElPKPS3_EEvT1_S7_T2_lS7_lPKT0_lS8_lS7_l,"axG",@progbits,_ZN9rocsolver6v33100L22larf_left_kernel_smallILi128E19rocblas_complex_numIfElPKPS3_EEvT1_S7_T2_lS7_lPKT0_lS8_lS7_l,comdat
	.globl	_ZN9rocsolver6v33100L22larf_left_kernel_smallILi128E19rocblas_complex_numIfElPKPS3_EEvT1_S7_T2_lS7_lPKT0_lS8_lS7_l ; -- Begin function _ZN9rocsolver6v33100L22larf_left_kernel_smallILi128E19rocblas_complex_numIfElPKPS3_EEvT1_S7_T2_lS7_lPKT0_lS8_lS7_l
	.p2align	8
	.type	_ZN9rocsolver6v33100L22larf_left_kernel_smallILi128E19rocblas_complex_numIfElPKPS3_EEvT1_S7_T2_lS7_lPKT0_lS8_lS7_l,@function
_ZN9rocsolver6v33100L22larf_left_kernel_smallILi128E19rocblas_complex_numIfElPKPS3_EEvT1_S7_T2_lS7_lPKT0_lS8_lS7_l: ; @_ZN9rocsolver6v33100L22larf_left_kernel_smallILi128E19rocblas_complex_numIfElPKPS3_EEvT1_S7_T2_lS7_lPKT0_lS8_lS7_l
; %bb.0:
	s_mov_b32 s28, s3
	s_load_dwordx8 s[12:19], s[0:1], 0x0
	s_load_dwordx2 s[4:5], s[0:1], 0x20
	s_load_dwordx8 s[20:27], s[0:1], 0x30
	s_load_dwordx2 s[8:9], s[0:1], 0x50
	s_mov_b32 s3, 0
	s_lshl_b64 s[0:1], s[2:3], 3
	s_waitcnt lgkmcnt(0)
	s_add_u32 s10, s16, s0
	s_addc_u32 s11, s17, s1
	s_add_u32 s0, s24, s0
	v_cmp_gt_i64_e64 s[6:7], s[4:5], 0
	s_addc_u32 s1, s25, s1
	s_mov_b64 s[16:17], 0
	s_and_b64 vcc, exec, s[6:7]
	s_cbranch_vccnz .LBB31_2
; %bb.1:
	s_sub_u32 s3, 1, s12
	s_subb_u32 s6, 0, s13
	s_mul_i32 s6, s4, s6
	s_mul_hi_u32 s7, s4, s3
	s_add_i32 s6, s7, s6
	s_mul_i32 s7, s5, s3
	s_add_i32 s17, s6, s7
	s_mul_i32 s16, s4, s3
.LBB31_2:
	s_load_dwordx2 s[24:25], s[0:1], 0x0
	v_mov_b32_e32 v1, 0
	v_cmp_gt_i64_e64 s[0:1], s[12:13], v[0:1]
	v_lshlrev_b32_e32 v36, 3, v0
	s_and_saveexec_b64 s[6:7], s[0:1]
	s_cbranch_execz .LBB31_5
; %bb.3:
	s_load_dwordx2 s[10:11], s[10:11], 0x0
	s_lshl_b64 s[16:17], s[16:17], 3
	s_lshl_b64 s[18:19], s[18:19], 3
	v_mad_u64_u32 v[2:3], s[30:31], s4, v0, 0
	s_waitcnt lgkmcnt(0)
	s_add_u32 s3, s10, s18
	v_mov_b32_e32 v4, v3
	s_addc_u32 s11, s11, s19
	v_mad_u64_u32 v[4:5], s[30:31], s5, v0, v[4:5]
	s_add_u32 s10, s3, s16
	v_mov_b32_e32 v3, v4
	s_addc_u32 s11, s11, s17
	v_lshl_add_u64 v[2:3], v[2:3], 3, s[10:11]
	s_lshl_b64 s[4:5], s[4:5], 10
	v_lshlrev_b32_e32 v6, 3, v0
	s_mov_b64 s[10:11], 0
	s_mov_b64 s[16:17], 0x80
	v_mov_b64_e32 v[4:5], v[0:1]
.LBB31_4:                               ; =>This Inner Loop Header: Depth=1
	flat_load_dwordx2 v[8:9], v[2:3]
	v_lshl_add_u64 v[4:5], v[4:5], 0, s[16:17]
	v_cmp_le_i64_e32 vcc, s[12:13], v[4:5]
	v_lshl_add_u64 v[2:3], v[2:3], 0, s[4:5]
	s_or_b64 s[10:11], vcc, s[10:11]
	s_waitcnt vmcnt(0) lgkmcnt(0)
	ds_write_b64 v6, v[8:9]
	v_add_u32_e32 v6, 0x400, v6
	s_andn2_b64 exec, exec, s[10:11]
	s_cbranch_execnz .LBB31_4
.LBB31_5:
	s_or_b64 exec, exec, s[6:7]
	s_mov_b32 s29, 0
	v_mov_b64_e32 v[2:3], s[28:29]
	v_cmp_le_i64_e32 vcc, s[14:15], v[2:3]
	s_waitcnt lgkmcnt(0)
	s_barrier
	s_cbranch_vccnz .LBB31_34
; %bb.6:
	s_mul_i32 s3, s23, s2
	s_mul_hi_u32 s4, s22, s2
	s_add_i32 s3, s4, s3
	s_mul_i32 s2, s22, s2
	s_lshl_b64 s[2:3], s[2:3], 3
	s_add_u32 s16, s20, s2
	s_addc_u32 s17, s21, s3
	s_cmp_gt_i32 s12, 1
	v_and_b32_e32 v2, 63, v0
	s_mul_i32 s10, s9, s28
	s_mul_hi_u32 s11, s8, s28
	s_cselect_b64 s[18:19], -1, 0
	v_cmp_eq_u32_e64 s[4:5], 0, v2
	v_mov_b32_e32 v3, -1
	v_not_b32_e32 v2, v0
	s_add_i32 s31, s11, s10
	s_mul_i32 s30, s8, s28
	v_lshl_add_u64 v[2:3], s[12:13], 0, v[2:3]
	s_add_u32 s10, s30, s26
	s_addc_u32 s11, s31, s27
	s_lshl_b64 s[20:21], s[8:9], 9
	v_lshrrev_b64 v[6:7], 7, v[2:3]
	s_lshl_b64 s[30:31], s[30:31], 3
	s_lshl_b64 s[26:27], s[26:27], 3
	v_lshl_add_u64 v[4:5], s[10:11], 0, v[0:1]
	v_lshl_add_u64 v[6:7], v[6:7], 0, 1
	s_mov_b32 s10, -1
	s_add_u32 s26, s30, s26
	s_brev_b32 s11, -8
	v_and_b32_e32 v14, -2, v6
	v_mov_b32_e32 v15, v7
	s_addc_u32 s27, s31, s27
	v_lshl_add_u64 v[10:11], v[4:5], 3, s[24:25]
	s_mov_b64 s[8:9], 0x180
	v_cmp_lt_u64_e32 vcc, s[10:11], v[2:3]
	v_lshlrev_b64 v[16:17], 7, v[14:15]
	v_mov_b32_e32 v18, 0
	v_cmp_ne_u64_e64 s[10:11], v[6:7], v[14:15]
	s_add_u32 s24, s24, s26
	v_mbcnt_lo_u32_b32 v6, -1, 0
	v_lshrrev_b32_e32 v8, 3, v0
	v_cmp_gt_u64_e64 s[22:23], s[8:9], v[2:3]
	s_mov_b64 s[8:9], 0x17f
	v_lshlrev_b64 v[12:13], 3, v[2:3]
	v_or_b32_e32 v16, v16, v0
	v_lshlrev_b32_e32 v20, 3, v0
	v_mov_b32_e32 v21, v18
	s_addc_u32 s25, s25, s27
	v_mbcnt_hi_u32_b32 v37, -1, v6
	v_mov_b32_e32 v6, 0x80
	v_cmp_gt_i32_e64 s[2:3], s12, v0
	v_cmp_eq_u32_e64 s[6:7], 0, v0
	v_cmp_lt_u64_e64 s[8:9], s[8:9], v[2:3]
	v_and_b32_e32 v12, 0xfffffc00, v12
	v_or_b32_e32 v4, 0x80, v0
	v_mov_b32_e32 v2, v0
	v_mov_b32_e32 v3, v18
	;; [unrolled: 1-line block ×3, first 2 shown]
	v_lshl_add_u64 v[22:23], s[24:25], 0, v[20:21]
	s_mov_b64 s[26:27], 0
	s_mov_b64 s[30:31], 0x400
	v_and_b32_e32 v38, 63, v37
	v_or_b32_e32 v39, 0x4000, v8
	s_mov_b64 s[34:35], 0x100
	s_mov_b64 s[36:37], 0x800
	v_lshlrev_b64 v[24:25], 3, v[16:17]
	s_mov_b64 s[38:39], 0x80
	v_mov_b64_e32 v[26:27], s[14:15]
	v_lshl_or_b32 v40, v37, 2, v6
	s_xor_b64 s[14:15], vcc, -1
	s_branch .LBB31_8
.LBB31_7:                               ;   in Loop: Header=BB31_8 Depth=1
	s_or_b64 exec, exec, s[40:41]
	s_add_u32 s28, s28, 64
	s_addc_u32 s29, s29, 0
	s_add_u32 s26, s26, 1
	s_addc_u32 s27, s27, 0
	s_add_u32 s24, s24, s20
	v_cmp_ge_i64_e32 vcc, s[28:29], v[26:27]
	v_lshl_add_u64 v[22:23], v[22:23], 0, s[20:21]
	s_addc_u32 s25, s25, s21
	s_cbranch_vccnz .LBB31_34
.LBB31_8:                               ; =>This Loop Header: Depth=1
                                        ;     Child Loop BB31_10 Depth 2
                                        ;     Child Loop BB31_26 Depth 2
	;; [unrolled: 1-line block ×3, first 2 shown]
	v_mov_b32_e32 v19, v18
	v_mov_b64_e32 v[6:7], v[18:19]
	s_and_saveexec_b64 s[40:41], s[2:3]
	s_cbranch_execz .LBB31_12
; %bb.9:                                ;   in Loop: Header=BB31_8 Depth=1
	v_mov_b32_e32 v6, 0
	s_mov_b64 s[42:43], 0
	v_mov_b64_e32 v[8:9], v[22:23]
	v_mov_b32_e32 v19, v36
	v_mov_b32_e32 v28, v0
	;; [unrolled: 1-line block ×3, first 2 shown]
.LBB31_10:                              ;   Parent Loop BB31_8 Depth=1
                                        ; =>  This Inner Loop Header: Depth=2
	flat_load_dwordx2 v[30:31], v[8:9]
	ds_read_b64 v[32:33], v19
	v_add_u32_e32 v28, 0x80, v28
	v_cmp_le_i32_e32 vcc, s12, v28
	v_add_u32_e32 v19, 0x400, v19
	v_lshl_add_u64 v[8:9], v[8:9], 0, s[30:31]
	s_or_b64 s[42:43], vcc, s[42:43]
	s_waitcnt vmcnt(0) lgkmcnt(0)
	v_mul_f32_e32 v34, v31, v33
	v_mul_f32_e32 v29, v31, v32
	v_fmac_f32_e32 v34, v30, v32
	v_fma_f32 v35, v30, v33, -v29
	v_pk_add_f32 v[6:7], v[6:7], v[34:35]
	s_andn2_b64 exec, exec, s[42:43]
	s_cbranch_execnz .LBB31_10
; %bb.11:                               ;   in Loop: Header=BB31_8 Depth=1
	s_or_b64 exec, exec, s[42:43]
.LBB31_12:                              ;   in Loop: Header=BB31_8 Depth=1
	s_or_b64 exec, exec, s[40:41]
	s_and_b64 vcc, exec, s[18:19]
	s_cbranch_vccz .LBB31_19
; %bb.13:                               ;   in Loop: Header=BB31_8 Depth=1
	v_cmp_ne_u32_e32 vcc, 63, v38
	s_nop 1
	v_addc_co_u32_e32 v8, vcc, 0, v37, vcc
	v_lshlrev_b32_e32 v9, 2, v8
	ds_bpermute_b32 v8, v9, v6
	ds_bpermute_b32 v9, v9, v7
	v_cmp_gt_u32_e32 vcc, 62, v38
	s_waitcnt lgkmcnt(0)
	v_pk_add_f32 v[8:9], v[6:7], v[8:9]
	v_cndmask_b32_e64 v19, 0, 2, vcc
	v_add_lshl_u32 v19, v19, v37, 2
	ds_bpermute_b32 v28, v19, v8
	ds_bpermute_b32 v29, v19, v9
	v_cmp_gt_u32_e32 vcc, 60, v38
	s_waitcnt lgkmcnt(0)
	v_pk_add_f32 v[8:9], v[8:9], v[28:29]
	v_cndmask_b32_e64 v19, 0, 4, vcc
	v_add_lshl_u32 v19, v19, v37, 2
	;; [unrolled: 7-line block ×4, first 2 shown]
	ds_bpermute_b32 v28, v19, v8
	ds_bpermute_b32 v29, v19, v9
	s_waitcnt lgkmcnt(0)
	v_pk_add_f32 v[8:9], v[8:9], v[28:29]
	ds_bpermute_b32 v28, v40, v8
	ds_bpermute_b32 v29, v40, v9
	s_waitcnt lgkmcnt(0)
	v_pk_add_f32 v[28:29], v[8:9], v[28:29]
	s_and_saveexec_b64 s[40:41], s[4:5]
; %bb.14:                               ;   in Loop: Header=BB31_8 Depth=1
	ds_write2_b32 v39, v28, v29 offset1:1
; %bb.15:                               ;   in Loop: Header=BB31_8 Depth=1
	s_or_b64 exec, exec, s[40:41]
	s_mov_b64 s[42:43], 0
	s_mov_b64 s[40:41], 0
	s_waitcnt lgkmcnt(0)
	s_barrier
                                        ; implicit-def: $vgpr8_vgpr9
	s_and_saveexec_b64 s[44:45], s[6:7]
	s_xor_b64 s[44:45], exec, s[44:45]
	s_cbranch_execz .LBB31_17
; %bb.16:                               ;   in Loop: Header=BB31_8 Depth=1
	ds_read_b64 v[8:9], v18 offset:16392
	s_mov_b64 s[40:41], exec
	s_waitcnt lgkmcnt(0)
	v_pk_add_f32 v[8:9], v[28:29], v[8:9]
.LBB31_17:                              ;   in Loop: Header=BB31_8 Depth=1
	s_or_b64 exec, exec, s[44:45]
	s_and_b64 vcc, exec, s[42:43]
	s_cbranch_vccnz .LBB31_20
.LBB31_18:                              ;   in Loop: Header=BB31_8 Depth=1
	v_mov_b64_e32 v[6:7], v[8:9]
	s_and_saveexec_b64 s[42:43], s[40:41]
	s_cbranch_execnz .LBB31_21
	s_branch .LBB31_22
.LBB31_19:                              ;   in Loop: Header=BB31_8 Depth=1
	s_mov_b64 s[40:41], 0
                                        ; implicit-def: $vgpr8_vgpr9
	s_cbranch_execz .LBB31_18
.LBB31_20:                              ;   in Loop: Header=BB31_8 Depth=1
	s_andn2_b64 s[40:41], s[40:41], exec
	s_and_b64 s[42:43], s[6:7], exec
	s_or_b64 s[40:41], s[40:41], s[42:43]
	s_and_saveexec_b64 s[42:43], s[40:41]
.LBB31_21:                              ;   in Loop: Header=BB31_8 Depth=1
	ds_write_b64 v18, v[6:7] offset:16384
.LBB31_22:                              ;   in Loop: Header=BB31_8 Depth=1
	s_or_b64 exec, exec, s[42:43]
	s_waitcnt lgkmcnt(0)
	s_barrier
	s_and_saveexec_b64 s[40:41], s[0:1]
	s_cbranch_execz .LBB31_7
; %bb.23:                               ;   in Loop: Header=BB31_8 Depth=1
	global_load_dwordx2 v[8:9], v18, s[16:17]
	ds_read_b64 v[28:29], v18 offset:16384
	s_mov_b64 s[44:45], s[22:23]
	v_mov_b64_e32 v[6:7], v[0:1]
	s_waitcnt vmcnt(0) lgkmcnt(0)
	v_mul_f32_e32 v19, v9, v29
	v_mul_f32_e32 v9, v9, v28
	v_fma_f32 v28, v28, -v8, -v19
	v_fma_f32 v30, v8, v29, -v9
	v_mov_b64_e32 v[8:9], v[20:21]
	s_and_saveexec_b64 s[42:43], s[8:9]
	s_cbranch_execz .LBB31_31
; %bb.24:                               ;   in Loop: Header=BB31_8 Depth=1
	s_mul_i32 s33, s21, s26
	s_mul_i32 s44, s20, s27
	v_mov_b32_e32 v6, s26
	s_add_i32 s33, s44, s33
	v_mad_u64_u32 v[6:7], s[44:45], s20, v6, v[10:11]
	v_add_u32_e32 v7, s33, v7
	v_lshl_add_u64 v[8:9], v[6:7], 0, v[12:13]
	v_cmp_ge_u64_e32 vcc, v[8:9], v[6:7]
	s_mov_b64 s[46:47], -1
	s_and_b64 s[48:49], vcc, s[14:15]
	v_mov_b64_e32 v[6:7], v[0:1]
	v_mov_b64_e32 v[8:9], v[20:21]
	s_and_saveexec_b64 s[44:45], s[48:49]
	s_cbranch_execz .LBB31_30
; %bb.25:                               ;   in Loop: Header=BB31_8 Depth=1
	v_mov_b64_e32 v[8:9], v[4:5]
	v_mov_b32_e32 v29, v28
	v_mov_b32_e32 v31, v30
	s_mov_b64 s[46:47], 0
	v_mov_b64_e32 v[32:33], v[14:15]
	v_mov_b64_e32 v[34:35], v[22:23]
	;; [unrolled: 1-line block ×3, first 2 shown]
.LBB31_26:                              ;   Parent Loop BB31_8 Depth=1
                                        ; =>  This Inner Loop Header: Depth=2
	flat_load_dwordx2 v[50:51], v[34:35]
	flat_load_dwordx2 v[42:43], v[34:35] offset:1024
	v_lshlrev_b32_e32 v19, 3, v6
	v_lshlrev_b32_e32 v41, 3, v8
	ds_read_b64 v[48:49], v19
	ds_read_b64 v[44:45], v41
	v_lshl_add_u64 v[32:33], v[32:33], 0, -2
	v_cmp_eq_u64_e32 vcc, 0, v[32:33]
	v_lshl_add_u64 v[8:9], v[8:9], 0, s[34:35]
	s_waitcnt lgkmcnt(0)
	v_mov_b32_e32 v46, v48
	v_mov_b32_e32 v47, v44
	;; [unrolled: 1-line block ×3, first 2 shown]
	v_pk_mul_f32 v[48:49], v[30:31], v[44:45]
	v_pk_mul_f32 v[44:45], v[28:29], v[44:45]
	v_pk_fma_f32 v[48:49], v[28:29], v[46:47], v[48:49] neg_lo:[0,0,1] neg_hi:[0,0,1]
	v_pk_fma_f32 v[44:45], v[30:31], v[46:47], v[44:45]
	v_lshl_add_u64 v[6:7], v[6:7], 0, s[34:35]
	s_or_b64 s[46:47], vcc, s[46:47]
	s_waitcnt vmcnt(0)
	v_mov_b32_e32 v46, v50
	v_mov_b32_e32 v47, v42
	;; [unrolled: 1-line block ×3, first 2 shown]
	v_pk_add_f32 v[46:47], v[46:47], v[48:49]
	v_pk_add_f32 v[42:43], v[44:45], v[42:43]
	v_mov_b32_e32 v44, v46
	v_mov_b32_e32 v45, v42
	;; [unrolled: 1-line block ×3, first 2 shown]
	flat_store_dwordx2 v[34:35], v[44:45]
	flat_store_dwordx2 v[34:35], v[42:43] offset:1024
	v_lshl_add_u64 v[34:35], v[34:35], 0, s[36:37]
	s_andn2_b64 exec, exec, s[46:47]
	s_cbranch_execnz .LBB31_26
; %bb.27:                               ;   in Loop: Header=BB31_8 Depth=1
	s_or_b64 exec, exec, s[46:47]
	s_mov_b64 s[46:47], 0
	s_and_saveexec_b64 s[48:49], s[10:11]
; %bb.28:                               ;   in Loop: Header=BB31_8 Depth=1
	s_mov_b64 s[46:47], exec
; %bb.29:                               ;   in Loop: Header=BB31_8 Depth=1
	s_or_b64 exec, exec, s[48:49]
	s_orn2_b64 s[46:47], s[46:47], exec
	v_mov_b64_e32 v[6:7], v[16:17]
	v_mov_b64_e32 v[8:9], v[24:25]
.LBB31_30:                              ;   in Loop: Header=BB31_8 Depth=1
	s_or_b64 exec, exec, s[44:45]
	s_andn2_b64 s[44:45], s[22:23], exec
	s_and_b64 s[46:47], s[46:47], exec
	s_or_b64 s[44:45], s[44:45], s[46:47]
.LBB31_31:                              ;   in Loop: Header=BB31_8 Depth=1
	s_or_b64 exec, exec, s[42:43]
	s_and_b64 exec, exec, s[44:45]
	s_cbranch_execz .LBB31_7
; %bb.32:                               ;   in Loop: Header=BB31_8 Depth=1
	v_mov_b32_e32 v31, v30
	v_mov_b32_e32 v29, v28
	v_lshlrev_b32_e32 v19, 3, v6
	v_lshl_add_u64 v[8:9], s[24:25], 0, v[8:9]
	s_mov_b64 s[42:43], 0
.LBB31_33:                              ;   Parent Loop BB31_8 Depth=1
                                        ; =>  This Inner Loop Header: Depth=2
	flat_load_dwordx2 v[32:33], v[8:9]
	ds_read_b64 v[34:35], v19
	v_lshl_add_u64 v[6:7], v[6:7], 0, s[38:39]
	v_cmp_le_i64_e32 vcc, s[12:13], v[6:7]
	v_add_u32_e32 v19, 0x400, v19
	s_or_b64 s[42:43], vcc, s[42:43]
	s_waitcnt lgkmcnt(0)
	v_pk_mul_f32 v[42:43], v[30:31], v[34:35] op_sel:[0,1] op_sel_hi:[1,0]
	s_nop 0
	v_pk_fma_f32 v[44:45], v[28:29], v[34:35], v[42:43] neg_lo:[0,0,1] neg_hi:[0,0,1]
	v_pk_fma_f32 v[34:35], v[28:29], v[34:35], v[42:43]
	s_nop 0
	v_mov_b32_e32 v45, v35
	s_waitcnt vmcnt(0)
	v_pk_add_f32 v[32:33], v[32:33], v[44:45]
	flat_store_dwordx2 v[8:9], v[32:33]
	v_lshl_add_u64 v[8:9], v[8:9], 0, s[30:31]
	s_andn2_b64 exec, exec, s[42:43]
	s_cbranch_execnz .LBB31_33
	s_branch .LBB31_7
.LBB31_34:
	s_endpgm
	.section	.rodata,"a",@progbits
	.p2align	6, 0x0
	.amdhsa_kernel _ZN9rocsolver6v33100L22larf_left_kernel_smallILi128E19rocblas_complex_numIfElPKPS3_EEvT1_S7_T2_lS7_lPKT0_lS8_lS7_l
		.amdhsa_group_segment_fixed_size 17408
		.amdhsa_private_segment_fixed_size 0
		.amdhsa_kernarg_size 96
		.amdhsa_user_sgpr_count 2
		.amdhsa_user_sgpr_dispatch_ptr 0
		.amdhsa_user_sgpr_queue_ptr 0
		.amdhsa_user_sgpr_kernarg_segment_ptr 1
		.amdhsa_user_sgpr_dispatch_id 0
		.amdhsa_user_sgpr_kernarg_preload_length 0
		.amdhsa_user_sgpr_kernarg_preload_offset 0
		.amdhsa_user_sgpr_private_segment_size 0
		.amdhsa_uses_dynamic_stack 0
		.amdhsa_enable_private_segment 0
		.amdhsa_system_sgpr_workgroup_id_x 1
		.amdhsa_system_sgpr_workgroup_id_y 1
		.amdhsa_system_sgpr_workgroup_id_z 0
		.amdhsa_system_sgpr_workgroup_info 0
		.amdhsa_system_vgpr_workitem_id 0
		.amdhsa_next_free_vgpr 81
		.amdhsa_next_free_sgpr 96
		.amdhsa_accum_offset 52
		.amdhsa_reserve_vcc 1
		.amdhsa_float_round_mode_32 0
		.amdhsa_float_round_mode_16_64 0
		.amdhsa_float_denorm_mode_32 3
		.amdhsa_float_denorm_mode_16_64 3
		.amdhsa_dx10_clamp 1
		.amdhsa_ieee_mode 1
		.amdhsa_fp16_overflow 0
		.amdhsa_tg_split 0
		.amdhsa_exception_fp_ieee_invalid_op 0
		.amdhsa_exception_fp_denorm_src 0
		.amdhsa_exception_fp_ieee_div_zero 0
		.amdhsa_exception_fp_ieee_overflow 0
		.amdhsa_exception_fp_ieee_underflow 0
		.amdhsa_exception_fp_ieee_inexact 0
		.amdhsa_exception_int_div_zero 0
	.end_amdhsa_kernel
	.section	.text._ZN9rocsolver6v33100L22larf_left_kernel_smallILi128E19rocblas_complex_numIfElPKPS3_EEvT1_S7_T2_lS7_lPKT0_lS8_lS7_l,"axG",@progbits,_ZN9rocsolver6v33100L22larf_left_kernel_smallILi128E19rocblas_complex_numIfElPKPS3_EEvT1_S7_T2_lS7_lPKT0_lS8_lS7_l,comdat
.Lfunc_end31:
	.size	_ZN9rocsolver6v33100L22larf_left_kernel_smallILi128E19rocblas_complex_numIfElPKPS3_EEvT1_S7_T2_lS7_lPKT0_lS8_lS7_l, .Lfunc_end31-_ZN9rocsolver6v33100L22larf_left_kernel_smallILi128E19rocblas_complex_numIfElPKPS3_EEvT1_S7_T2_lS7_lPKT0_lS8_lS7_l
                                        ; -- End function
	.set _ZN9rocsolver6v33100L22larf_left_kernel_smallILi128E19rocblas_complex_numIfElPKPS3_EEvT1_S7_T2_lS7_lPKT0_lS8_lS7_l.num_vgpr, 52
	.set _ZN9rocsolver6v33100L22larf_left_kernel_smallILi128E19rocblas_complex_numIfElPKPS3_EEvT1_S7_T2_lS7_lPKT0_lS8_lS7_l.num_agpr, 0
	.set _ZN9rocsolver6v33100L22larf_left_kernel_smallILi128E19rocblas_complex_numIfElPKPS3_EEvT1_S7_T2_lS7_lPKT0_lS8_lS7_l.numbered_sgpr, 50
	.set _ZN9rocsolver6v33100L22larf_left_kernel_smallILi128E19rocblas_complex_numIfElPKPS3_EEvT1_S7_T2_lS7_lPKT0_lS8_lS7_l.num_named_barrier, 0
	.set _ZN9rocsolver6v33100L22larf_left_kernel_smallILi128E19rocblas_complex_numIfElPKPS3_EEvT1_S7_T2_lS7_lPKT0_lS8_lS7_l.private_seg_size, 0
	.set _ZN9rocsolver6v33100L22larf_left_kernel_smallILi128E19rocblas_complex_numIfElPKPS3_EEvT1_S7_T2_lS7_lPKT0_lS8_lS7_l.uses_vcc, 1
	.set _ZN9rocsolver6v33100L22larf_left_kernel_smallILi128E19rocblas_complex_numIfElPKPS3_EEvT1_S7_T2_lS7_lPKT0_lS8_lS7_l.uses_flat_scratch, 0
	.set _ZN9rocsolver6v33100L22larf_left_kernel_smallILi128E19rocblas_complex_numIfElPKPS3_EEvT1_S7_T2_lS7_lPKT0_lS8_lS7_l.has_dyn_sized_stack, 0
	.set _ZN9rocsolver6v33100L22larf_left_kernel_smallILi128E19rocblas_complex_numIfElPKPS3_EEvT1_S7_T2_lS7_lPKT0_lS8_lS7_l.has_recursion, 0
	.set _ZN9rocsolver6v33100L22larf_left_kernel_smallILi128E19rocblas_complex_numIfElPKPS3_EEvT1_S7_T2_lS7_lPKT0_lS8_lS7_l.has_indirect_call, 0
	.section	.AMDGPU.csdata,"",@progbits
; Kernel info:
; codeLenInByte = 1884
; TotalNumSgprs: 56
; NumVgprs: 52
; NumAgprs: 0
; TotalNumVgprs: 52
; ScratchSize: 0
; MemoryBound: 0
; FloatMode: 240
; IeeeMode: 1
; LDSByteSize: 17408 bytes/workgroup (compile time only)
; SGPRBlocks: 12
; VGPRBlocks: 10
; NumSGPRsForWavesPerEU: 102
; NumVGPRsForWavesPerEU: 81
; AccumOffset: 52
; Occupancy: 5
; WaveLimiterHint : 1
; COMPUTE_PGM_RSRC2:SCRATCH_EN: 0
; COMPUTE_PGM_RSRC2:USER_SGPR: 2
; COMPUTE_PGM_RSRC2:TRAP_HANDLER: 0
; COMPUTE_PGM_RSRC2:TGID_X_EN: 1
; COMPUTE_PGM_RSRC2:TGID_Y_EN: 1
; COMPUTE_PGM_RSRC2:TGID_Z_EN: 0
; COMPUTE_PGM_RSRC2:TIDIG_COMP_CNT: 0
; COMPUTE_PGM_RSRC3_GFX90A:ACCUM_OFFSET: 12
; COMPUTE_PGM_RSRC3_GFX90A:TG_SPLIT: 0
	.section	.text._ZN9rocsolver6v33100L22larf_left_kernel_smallILi256E19rocblas_complex_numIfElPKPS3_EEvT1_S7_T2_lS7_lPKT0_lS8_lS7_l,"axG",@progbits,_ZN9rocsolver6v33100L22larf_left_kernel_smallILi256E19rocblas_complex_numIfElPKPS3_EEvT1_S7_T2_lS7_lPKT0_lS8_lS7_l,comdat
	.globl	_ZN9rocsolver6v33100L22larf_left_kernel_smallILi256E19rocblas_complex_numIfElPKPS3_EEvT1_S7_T2_lS7_lPKT0_lS8_lS7_l ; -- Begin function _ZN9rocsolver6v33100L22larf_left_kernel_smallILi256E19rocblas_complex_numIfElPKPS3_EEvT1_S7_T2_lS7_lPKT0_lS8_lS7_l
	.p2align	8
	.type	_ZN9rocsolver6v33100L22larf_left_kernel_smallILi256E19rocblas_complex_numIfElPKPS3_EEvT1_S7_T2_lS7_lPKT0_lS8_lS7_l,@function
_ZN9rocsolver6v33100L22larf_left_kernel_smallILi256E19rocblas_complex_numIfElPKPS3_EEvT1_S7_T2_lS7_lPKT0_lS8_lS7_l: ; @_ZN9rocsolver6v33100L22larf_left_kernel_smallILi256E19rocblas_complex_numIfElPKPS3_EEvT1_S7_T2_lS7_lPKT0_lS8_lS7_l
; %bb.0:
	s_mov_b32 s28, s3
	s_load_dwordx8 s[12:19], s[0:1], 0x0
	s_load_dwordx2 s[4:5], s[0:1], 0x20
	s_load_dwordx8 s[20:27], s[0:1], 0x30
	s_load_dwordx2 s[8:9], s[0:1], 0x50
	s_mov_b32 s3, 0
	s_lshl_b64 s[0:1], s[2:3], 3
	s_waitcnt lgkmcnt(0)
	s_add_u32 s10, s16, s0
	s_addc_u32 s11, s17, s1
	s_add_u32 s0, s24, s0
	v_cmp_gt_i64_e64 s[6:7], s[4:5], 0
	s_addc_u32 s1, s25, s1
	s_mov_b64 s[16:17], 0
	s_and_b64 vcc, exec, s[6:7]
	s_cbranch_vccnz .LBB32_2
; %bb.1:
	s_sub_u32 s3, 1, s12
	s_subb_u32 s6, 0, s13
	s_mul_i32 s6, s4, s6
	s_mul_hi_u32 s7, s4, s3
	s_add_i32 s6, s7, s6
	s_mul_i32 s7, s5, s3
	s_add_i32 s17, s6, s7
	s_mul_i32 s16, s4, s3
.LBB32_2:
	s_load_dwordx2 s[24:25], s[0:1], 0x0
	v_mov_b32_e32 v1, 0
	v_cmp_gt_i64_e64 s[0:1], s[12:13], v[0:1]
	v_lshlrev_b32_e32 v36, 3, v0
	s_and_saveexec_b64 s[6:7], s[0:1]
	s_cbranch_execz .LBB32_5
; %bb.3:
	s_load_dwordx2 s[10:11], s[10:11], 0x0
	s_lshl_b64 s[16:17], s[16:17], 3
	s_lshl_b64 s[18:19], s[18:19], 3
	v_mad_u64_u32 v[2:3], s[30:31], s4, v0, 0
	s_waitcnt lgkmcnt(0)
	s_add_u32 s3, s10, s18
	v_mov_b32_e32 v4, v3
	s_addc_u32 s11, s11, s19
	v_mad_u64_u32 v[4:5], s[30:31], s5, v0, v[4:5]
	s_add_u32 s10, s3, s16
	v_mov_b32_e32 v3, v4
	s_addc_u32 s11, s11, s17
	v_lshl_add_u64 v[2:3], v[2:3], 3, s[10:11]
	s_lshl_b64 s[4:5], s[4:5], 11
	v_lshlrev_b32_e32 v6, 3, v0
	s_mov_b64 s[10:11], 0
	s_mov_b64 s[16:17], 0x100
	v_mov_b64_e32 v[4:5], v[0:1]
.LBB32_4:                               ; =>This Inner Loop Header: Depth=1
	flat_load_dwordx2 v[8:9], v[2:3]
	v_lshl_add_u64 v[4:5], v[4:5], 0, s[16:17]
	v_cmp_le_i64_e32 vcc, s[12:13], v[4:5]
	v_lshl_add_u64 v[2:3], v[2:3], 0, s[4:5]
	s_or_b64 s[10:11], vcc, s[10:11]
	s_waitcnt vmcnt(0) lgkmcnt(0)
	ds_write_b64 v6, v[8:9]
	v_add_u32_e32 v6, 0x800, v6
	s_andn2_b64 exec, exec, s[10:11]
	s_cbranch_execnz .LBB32_4
.LBB32_5:
	s_or_b64 exec, exec, s[6:7]
	s_mov_b32 s29, 0
	v_mov_b64_e32 v[2:3], s[28:29]
	v_cmp_le_i64_e32 vcc, s[14:15], v[2:3]
	s_waitcnt lgkmcnt(0)
	s_barrier
	s_cbranch_vccnz .LBB32_34
; %bb.6:
	s_mul_i32 s3, s23, s2
	s_mul_hi_u32 s4, s22, s2
	s_add_i32 s3, s4, s3
	s_mul_i32 s2, s22, s2
	s_lshl_b64 s[2:3], s[2:3], 3
	s_add_u32 s16, s20, s2
	s_addc_u32 s17, s21, s3
	s_cmp_gt_i32 s12, 1
	v_and_b32_e32 v2, 63, v0
	s_mul_i32 s10, s9, s28
	s_mul_hi_u32 s11, s8, s28
	s_cselect_b64 s[18:19], -1, 0
	v_cmp_eq_u32_e64 s[4:5], 0, v2
	v_mov_b32_e32 v3, -1
	v_not_b32_e32 v2, v0
	s_add_i32 s31, s11, s10
	s_mul_i32 s30, s8, s28
	v_lshl_add_u64 v[2:3], s[12:13], 0, v[2:3]
	s_add_u32 s10, s30, s26
	s_addc_u32 s11, s31, s27
	s_lshl_b64 s[20:21], s[8:9], 9
	v_lshrrev_b64 v[6:7], 8, v[2:3]
	s_lshl_b64 s[30:31], s[30:31], 3
	s_lshl_b64 s[26:27], s[26:27], 3
	v_lshl_add_u64 v[4:5], s[10:11], 0, v[0:1]
	v_lshl_add_u64 v[6:7], v[6:7], 0, 1
	s_mov_b32 s10, -1
	s_add_u32 s26, s30, s26
	s_brev_b32 s11, -8
	v_and_b32_e32 v14, -2, v6
	v_mov_b32_e32 v15, v7
	s_addc_u32 s27, s31, s27
	v_lshl_add_u64 v[10:11], v[4:5], 3, s[24:25]
	s_mov_b64 s[8:9], 0x300
	v_cmp_lt_u64_e32 vcc, s[10:11], v[2:3]
	v_lshlrev_b64 v[16:17], 8, v[14:15]
	v_mov_b32_e32 v18, 0
	v_cmp_ne_u64_e64 s[10:11], v[6:7], v[14:15]
	s_add_u32 s24, s24, s26
	v_mbcnt_lo_u32_b32 v6, -1, 0
	v_lshrrev_b32_e32 v8, 3, v0
	v_cmp_gt_u64_e64 s[22:23], s[8:9], v[2:3]
	s_mov_b64 s[8:9], 0x2ff
	v_lshlrev_b64 v[12:13], 3, v[2:3]
	v_or_b32_e32 v16, v16, v0
	v_lshlrev_b32_e32 v20, 3, v0
	v_mov_b32_e32 v21, v18
	s_addc_u32 s25, s25, s27
	v_mbcnt_hi_u32_b32 v37, -1, v6
	v_mov_b32_e32 v6, 0x80
	v_cmp_gt_i32_e64 s[2:3], s12, v0
	v_cmp_eq_u32_e64 s[6:7], 0, v0
	v_cmp_lt_u64_e64 s[8:9], s[8:9], v[2:3]
	v_and_b32_e32 v12, 0xfffff800, v12
	v_or_b32_e32 v4, 0x100, v0
	v_mov_b32_e32 v2, v0
	v_mov_b32_e32 v3, v18
	;; [unrolled: 1-line block ×3, first 2 shown]
	v_lshl_add_u64 v[22:23], s[24:25], 0, v[20:21]
	s_mov_b64 s[26:27], 0
	s_mov_b64 s[30:31], 0x800
	v_and_b32_e32 v38, 63, v37
	v_or_b32_e32 v39, 0x4000, v8
	v_mov_b32_e32 v40, 0x4008
	s_mov_b64 s[34:35], 0x200
	s_mov_b64 s[36:37], 0x1000
	v_lshlrev_b64 v[24:25], 3, v[16:17]
	s_mov_b64 s[38:39], 0x100
	v_mov_b64_e32 v[26:27], s[14:15]
	v_lshl_or_b32 v41, v37, 2, v6
	s_xor_b64 s[14:15], vcc, -1
	s_branch .LBB32_8
.LBB32_7:                               ;   in Loop: Header=BB32_8 Depth=1
	s_or_b64 exec, exec, s[40:41]
	s_add_u32 s28, s28, 64
	s_addc_u32 s29, s29, 0
	s_add_u32 s26, s26, 1
	s_addc_u32 s27, s27, 0
	s_add_u32 s24, s24, s20
	v_cmp_ge_i64_e32 vcc, s[28:29], v[26:27]
	v_lshl_add_u64 v[22:23], v[22:23], 0, s[20:21]
	s_addc_u32 s25, s25, s21
	s_cbranch_vccnz .LBB32_34
.LBB32_8:                               ; =>This Loop Header: Depth=1
                                        ;     Child Loop BB32_10 Depth 2
                                        ;     Child Loop BB32_26 Depth 2
	;; [unrolled: 1-line block ×3, first 2 shown]
	v_mov_b32_e32 v19, v18
	v_mov_b64_e32 v[6:7], v[18:19]
	s_and_saveexec_b64 s[40:41], s[2:3]
	s_cbranch_execz .LBB32_12
; %bb.9:                                ;   in Loop: Header=BB32_8 Depth=1
	v_mov_b32_e32 v7, 0
	s_mov_b64 s[42:43], 0
	v_mov_b64_e32 v[8:9], v[22:23]
	v_mov_b32_e32 v19, v36
	v_mov_b32_e32 v28, v0
	;; [unrolled: 1-line block ×3, first 2 shown]
.LBB32_10:                              ;   Parent Loop BB32_8 Depth=1
                                        ; =>  This Inner Loop Header: Depth=2
	flat_load_dwordx2 v[30:31], v[8:9]
	ds_read_b64 v[32:33], v19
	v_add_u32_e32 v28, 0x100, v28
	v_cmp_le_i32_e32 vcc, s12, v28
	v_add_u32_e32 v19, 0x800, v19
	v_lshl_add_u64 v[8:9], v[8:9], 0, s[30:31]
	s_or_b64 s[42:43], vcc, s[42:43]
	s_waitcnt vmcnt(0) lgkmcnt(0)
	v_mul_f32_e32 v29, v31, v33
	v_mul_f32_e32 v31, v31, v32
	v_fmac_f32_e32 v29, v30, v32
	v_fma_f32 v30, v30, v33, -v31
	v_add_f32_e32 v6, v6, v29
	v_add_f32_e32 v7, v7, v30
	s_andn2_b64 exec, exec, s[42:43]
	s_cbranch_execnz .LBB32_10
; %bb.11:                               ;   in Loop: Header=BB32_8 Depth=1
	s_or_b64 exec, exec, s[42:43]
.LBB32_12:                              ;   in Loop: Header=BB32_8 Depth=1
	s_or_b64 exec, exec, s[40:41]
	s_and_b64 vcc, exec, s[18:19]
	s_cbranch_vccz .LBB32_19
; %bb.13:                               ;   in Loop: Header=BB32_8 Depth=1
	v_cmp_ne_u32_e32 vcc, 63, v38
	s_nop 1
	v_addc_co_u32_e32 v8, vcc, 0, v37, vcc
	v_lshlrev_b32_e32 v9, 2, v8
	ds_bpermute_b32 v8, v9, v6
	ds_bpermute_b32 v9, v9, v7
	v_cmp_gt_u32_e32 vcc, 62, v38
	s_waitcnt lgkmcnt(0)
	v_pk_add_f32 v[8:9], v[6:7], v[8:9]
	v_cndmask_b32_e64 v19, 0, 2, vcc
	v_add_lshl_u32 v19, v19, v37, 2
	ds_bpermute_b32 v28, v19, v8
	ds_bpermute_b32 v29, v19, v9
	v_cmp_gt_u32_e32 vcc, 60, v38
	s_waitcnt lgkmcnt(0)
	v_pk_add_f32 v[8:9], v[8:9], v[28:29]
	v_cndmask_b32_e64 v19, 0, 4, vcc
	v_add_lshl_u32 v19, v19, v37, 2
	;; [unrolled: 7-line block ×4, first 2 shown]
	ds_bpermute_b32 v28, v19, v8
	ds_bpermute_b32 v29, v19, v9
	s_waitcnt lgkmcnt(0)
	v_pk_add_f32 v[8:9], v[8:9], v[28:29]
	ds_bpermute_b32 v28, v41, v8
	ds_bpermute_b32 v29, v41, v9
	s_waitcnt lgkmcnt(0)
	v_pk_add_f32 v[28:29], v[8:9], v[28:29]
	s_and_saveexec_b64 s[40:41], s[4:5]
; %bb.14:                               ;   in Loop: Header=BB32_8 Depth=1
	ds_write2_b32 v39, v28, v29 offset1:1
; %bb.15:                               ;   in Loop: Header=BB32_8 Depth=1
	s_or_b64 exec, exec, s[40:41]
	s_mov_b64 s[42:43], 0
	s_mov_b64 s[40:41], 0
	s_waitcnt lgkmcnt(0)
	s_barrier
                                        ; implicit-def: $vgpr8_vgpr9
	s_and_saveexec_b64 s[44:45], s[6:7]
	s_xor_b64 s[44:45], exec, s[44:45]
	s_cbranch_execz .LBB32_17
; %bb.16:                               ;   in Loop: Header=BB32_8 Depth=1
	ds_read2_b64 v[30:33], v40 offset1:1
	ds_read_b64 v[8:9], v18 offset:16408
	s_mov_b64 s[40:41], exec
	s_waitcnt lgkmcnt(0)
	v_pk_add_f32 v[28:29], v[28:29], v[30:31]
	s_nop 0
	v_pk_add_f32 v[28:29], v[28:29], v[32:33]
	s_waitcnt lgkmcnt(0)
	v_pk_add_f32 v[8:9], v[28:29], v[8:9]
.LBB32_17:                              ;   in Loop: Header=BB32_8 Depth=1
	s_or_b64 exec, exec, s[44:45]
	s_and_b64 vcc, exec, s[42:43]
	s_cbranch_vccnz .LBB32_20
.LBB32_18:                              ;   in Loop: Header=BB32_8 Depth=1
	v_mov_b64_e32 v[6:7], v[8:9]
	s_and_saveexec_b64 s[42:43], s[40:41]
	s_cbranch_execnz .LBB32_21
	s_branch .LBB32_22
.LBB32_19:                              ;   in Loop: Header=BB32_8 Depth=1
	s_mov_b64 s[40:41], 0
                                        ; implicit-def: $vgpr8_vgpr9
	s_cbranch_execz .LBB32_18
.LBB32_20:                              ;   in Loop: Header=BB32_8 Depth=1
	s_andn2_b64 s[40:41], s[40:41], exec
	s_and_b64 s[42:43], s[6:7], exec
	s_or_b64 s[40:41], s[40:41], s[42:43]
	s_and_saveexec_b64 s[42:43], s[40:41]
.LBB32_21:                              ;   in Loop: Header=BB32_8 Depth=1
	ds_write_b64 v18, v[6:7] offset:16384
.LBB32_22:                              ;   in Loop: Header=BB32_8 Depth=1
	s_or_b64 exec, exec, s[42:43]
	s_waitcnt lgkmcnt(0)
	s_barrier
	s_and_saveexec_b64 s[40:41], s[0:1]
	s_cbranch_execz .LBB32_7
; %bb.23:                               ;   in Loop: Header=BB32_8 Depth=1
	global_load_dwordx2 v[8:9], v18, s[16:17]
	ds_read_b64 v[28:29], v18 offset:16384
	s_mov_b64 s[44:45], s[22:23]
	v_mov_b64_e32 v[6:7], v[0:1]
	s_waitcnt vmcnt(0) lgkmcnt(0)
	v_mul_f32_e32 v19, v9, v29
	v_mul_f32_e32 v9, v9, v28
	v_fma_f32 v28, v28, -v8, -v19
	v_fma_f32 v30, v8, v29, -v9
	v_mov_b64_e32 v[8:9], v[20:21]
	s_and_saveexec_b64 s[42:43], s[8:9]
	s_cbranch_execz .LBB32_31
; %bb.24:                               ;   in Loop: Header=BB32_8 Depth=1
	s_mul_i32 s33, s21, s26
	s_mul_i32 s44, s20, s27
	v_mov_b32_e32 v6, s26
	s_add_i32 s33, s44, s33
	v_mad_u64_u32 v[6:7], s[44:45], s20, v6, v[10:11]
	v_add_u32_e32 v7, s33, v7
	v_lshl_add_u64 v[8:9], v[6:7], 0, v[12:13]
	v_cmp_ge_u64_e32 vcc, v[8:9], v[6:7]
	s_mov_b64 s[46:47], -1
	s_and_b64 s[48:49], vcc, s[14:15]
	v_mov_b64_e32 v[6:7], v[0:1]
	v_mov_b64_e32 v[8:9], v[20:21]
	s_and_saveexec_b64 s[44:45], s[48:49]
	s_cbranch_execz .LBB32_30
; %bb.25:                               ;   in Loop: Header=BB32_8 Depth=1
	v_mov_b64_e32 v[8:9], v[4:5]
	v_mov_b32_e32 v29, v28
	v_mov_b32_e32 v31, v30
	s_mov_b64 s[46:47], 0
	v_mov_b64_e32 v[32:33], v[14:15]
	v_mov_b64_e32 v[34:35], v[22:23]
	;; [unrolled: 1-line block ×3, first 2 shown]
.LBB32_26:                              ;   Parent Loop BB32_8 Depth=1
                                        ; =>  This Inner Loop Header: Depth=2
	flat_load_dwordx2 v[50:51], v[34:35]
	flat_load_dwordx2 v[42:43], v[34:35] offset:2048
	v_lshlrev_b32_e32 v19, 3, v6
	v_lshlrev_b32_e32 v44, 3, v8
	ds_read_b64 v[48:49], v19
	ds_read_b64 v[44:45], v44
	v_lshl_add_u64 v[32:33], v[32:33], 0, -2
	v_cmp_eq_u64_e32 vcc, 0, v[32:33]
	v_lshl_add_u64 v[8:9], v[8:9], 0, s[34:35]
	s_waitcnt lgkmcnt(0)
	v_mov_b32_e32 v46, v48
	v_mov_b32_e32 v47, v44
	;; [unrolled: 1-line block ×3, first 2 shown]
	v_pk_mul_f32 v[48:49], v[30:31], v[44:45]
	v_pk_mul_f32 v[44:45], v[28:29], v[44:45]
	v_pk_fma_f32 v[48:49], v[28:29], v[46:47], v[48:49] neg_lo:[0,0,1] neg_hi:[0,0,1]
	v_pk_fma_f32 v[44:45], v[30:31], v[46:47], v[44:45]
	v_lshl_add_u64 v[6:7], v[6:7], 0, s[34:35]
	s_or_b64 s[46:47], vcc, s[46:47]
	s_waitcnt vmcnt(0)
	v_mov_b32_e32 v46, v50
	v_mov_b32_e32 v47, v42
	;; [unrolled: 1-line block ×3, first 2 shown]
	v_pk_add_f32 v[46:47], v[46:47], v[48:49]
	v_pk_add_f32 v[42:43], v[44:45], v[42:43]
	v_mov_b32_e32 v44, v46
	v_mov_b32_e32 v45, v42
	;; [unrolled: 1-line block ×3, first 2 shown]
	flat_store_dwordx2 v[34:35], v[44:45]
	flat_store_dwordx2 v[34:35], v[42:43] offset:2048
	v_lshl_add_u64 v[34:35], v[34:35], 0, s[36:37]
	s_andn2_b64 exec, exec, s[46:47]
	s_cbranch_execnz .LBB32_26
; %bb.27:                               ;   in Loop: Header=BB32_8 Depth=1
	s_or_b64 exec, exec, s[46:47]
	s_mov_b64 s[46:47], 0
	s_and_saveexec_b64 s[48:49], s[10:11]
; %bb.28:                               ;   in Loop: Header=BB32_8 Depth=1
	s_mov_b64 s[46:47], exec
; %bb.29:                               ;   in Loop: Header=BB32_8 Depth=1
	s_or_b64 exec, exec, s[48:49]
	s_orn2_b64 s[46:47], s[46:47], exec
	v_mov_b64_e32 v[6:7], v[16:17]
	v_mov_b64_e32 v[8:9], v[24:25]
.LBB32_30:                              ;   in Loop: Header=BB32_8 Depth=1
	s_or_b64 exec, exec, s[44:45]
	s_andn2_b64 s[44:45], s[22:23], exec
	s_and_b64 s[46:47], s[46:47], exec
	s_or_b64 s[44:45], s[44:45], s[46:47]
.LBB32_31:                              ;   in Loop: Header=BB32_8 Depth=1
	s_or_b64 exec, exec, s[42:43]
	s_and_b64 exec, exec, s[44:45]
	s_cbranch_execz .LBB32_7
; %bb.32:                               ;   in Loop: Header=BB32_8 Depth=1
	v_mov_b32_e32 v31, v30
	v_mov_b32_e32 v29, v28
	v_lshlrev_b32_e32 v19, 3, v6
	v_lshl_add_u64 v[8:9], s[24:25], 0, v[8:9]
	s_mov_b64 s[42:43], 0
.LBB32_33:                              ;   Parent Loop BB32_8 Depth=1
                                        ; =>  This Inner Loop Header: Depth=2
	flat_load_dwordx2 v[32:33], v[8:9]
	ds_read_b64 v[34:35], v19
	v_lshl_add_u64 v[6:7], v[6:7], 0, s[38:39]
	v_cmp_le_i64_e32 vcc, s[12:13], v[6:7]
	v_add_u32_e32 v19, 0x800, v19
	s_or_b64 s[42:43], vcc, s[42:43]
	s_waitcnt lgkmcnt(0)
	v_pk_mul_f32 v[42:43], v[30:31], v[34:35] op_sel:[0,1] op_sel_hi:[1,0]
	s_nop 0
	v_pk_fma_f32 v[44:45], v[28:29], v[34:35], v[42:43] neg_lo:[0,0,1] neg_hi:[0,0,1]
	v_pk_fma_f32 v[34:35], v[28:29], v[34:35], v[42:43]
	s_nop 0
	v_mov_b32_e32 v45, v35
	s_waitcnt vmcnt(0)
	v_pk_add_f32 v[32:33], v[32:33], v[44:45]
	flat_store_dwordx2 v[8:9], v[32:33]
	v_lshl_add_u64 v[8:9], v[8:9], 0, s[30:31]
	s_andn2_b64 exec, exec, s[42:43]
	s_cbranch_execnz .LBB32_33
	s_branch .LBB32_7
.LBB32_34:
	s_endpgm
	.section	.rodata,"a",@progbits
	.p2align	6, 0x0
	.amdhsa_kernel _ZN9rocsolver6v33100L22larf_left_kernel_smallILi256E19rocblas_complex_numIfElPKPS3_EEvT1_S7_T2_lS7_lPKT0_lS8_lS7_l
		.amdhsa_group_segment_fixed_size 18432
		.amdhsa_private_segment_fixed_size 0
		.amdhsa_kernarg_size 96
		.amdhsa_user_sgpr_count 2
		.amdhsa_user_sgpr_dispatch_ptr 0
		.amdhsa_user_sgpr_queue_ptr 0
		.amdhsa_user_sgpr_kernarg_segment_ptr 1
		.amdhsa_user_sgpr_dispatch_id 0
		.amdhsa_user_sgpr_kernarg_preload_length 0
		.amdhsa_user_sgpr_kernarg_preload_offset 0
		.amdhsa_user_sgpr_private_segment_size 0
		.amdhsa_uses_dynamic_stack 0
		.amdhsa_enable_private_segment 0
		.amdhsa_system_sgpr_workgroup_id_x 1
		.amdhsa_system_sgpr_workgroup_id_y 1
		.amdhsa_system_sgpr_workgroup_id_z 0
		.amdhsa_system_sgpr_workgroup_info 0
		.amdhsa_system_vgpr_workitem_id 0
		.amdhsa_next_free_vgpr 52
		.amdhsa_next_free_sgpr 50
		.amdhsa_accum_offset 52
		.amdhsa_reserve_vcc 1
		.amdhsa_float_round_mode_32 0
		.amdhsa_float_round_mode_16_64 0
		.amdhsa_float_denorm_mode_32 3
		.amdhsa_float_denorm_mode_16_64 3
		.amdhsa_dx10_clamp 1
		.amdhsa_ieee_mode 1
		.amdhsa_fp16_overflow 0
		.amdhsa_tg_split 0
		.amdhsa_exception_fp_ieee_invalid_op 0
		.amdhsa_exception_fp_denorm_src 0
		.amdhsa_exception_fp_ieee_div_zero 0
		.amdhsa_exception_fp_ieee_overflow 0
		.amdhsa_exception_fp_ieee_underflow 0
		.amdhsa_exception_fp_ieee_inexact 0
		.amdhsa_exception_int_div_zero 0
	.end_amdhsa_kernel
	.section	.text._ZN9rocsolver6v33100L22larf_left_kernel_smallILi256E19rocblas_complex_numIfElPKPS3_EEvT1_S7_T2_lS7_lPKT0_lS8_lS7_l,"axG",@progbits,_ZN9rocsolver6v33100L22larf_left_kernel_smallILi256E19rocblas_complex_numIfElPKPS3_EEvT1_S7_T2_lS7_lPKT0_lS8_lS7_l,comdat
.Lfunc_end32:
	.size	_ZN9rocsolver6v33100L22larf_left_kernel_smallILi256E19rocblas_complex_numIfElPKPS3_EEvT1_S7_T2_lS7_lPKT0_lS8_lS7_l, .Lfunc_end32-_ZN9rocsolver6v33100L22larf_left_kernel_smallILi256E19rocblas_complex_numIfElPKPS3_EEvT1_S7_T2_lS7_lPKT0_lS8_lS7_l
                                        ; -- End function
	.set _ZN9rocsolver6v33100L22larf_left_kernel_smallILi256E19rocblas_complex_numIfElPKPS3_EEvT1_S7_T2_lS7_lPKT0_lS8_lS7_l.num_vgpr, 52
	.set _ZN9rocsolver6v33100L22larf_left_kernel_smallILi256E19rocblas_complex_numIfElPKPS3_EEvT1_S7_T2_lS7_lPKT0_lS8_lS7_l.num_agpr, 0
	.set _ZN9rocsolver6v33100L22larf_left_kernel_smallILi256E19rocblas_complex_numIfElPKPS3_EEvT1_S7_T2_lS7_lPKT0_lS8_lS7_l.numbered_sgpr, 50
	.set _ZN9rocsolver6v33100L22larf_left_kernel_smallILi256E19rocblas_complex_numIfElPKPS3_EEvT1_S7_T2_lS7_lPKT0_lS8_lS7_l.num_named_barrier, 0
	.set _ZN9rocsolver6v33100L22larf_left_kernel_smallILi256E19rocblas_complex_numIfElPKPS3_EEvT1_S7_T2_lS7_lPKT0_lS8_lS7_l.private_seg_size, 0
	.set _ZN9rocsolver6v33100L22larf_left_kernel_smallILi256E19rocblas_complex_numIfElPKPS3_EEvT1_S7_T2_lS7_lPKT0_lS8_lS7_l.uses_vcc, 1
	.set _ZN9rocsolver6v33100L22larf_left_kernel_smallILi256E19rocblas_complex_numIfElPKPS3_EEvT1_S7_T2_lS7_lPKT0_lS8_lS7_l.uses_flat_scratch, 0
	.set _ZN9rocsolver6v33100L22larf_left_kernel_smallILi256E19rocblas_complex_numIfElPKPS3_EEvT1_S7_T2_lS7_lPKT0_lS8_lS7_l.has_dyn_sized_stack, 0
	.set _ZN9rocsolver6v33100L22larf_left_kernel_smallILi256E19rocblas_complex_numIfElPKPS3_EEvT1_S7_T2_lS7_lPKT0_lS8_lS7_l.has_recursion, 0
	.set _ZN9rocsolver6v33100L22larf_left_kernel_smallILi256E19rocblas_complex_numIfElPKPS3_EEvT1_S7_T2_lS7_lPKT0_lS8_lS7_l.has_indirect_call, 0
	.section	.AMDGPU.csdata,"",@progbits
; Kernel info:
; codeLenInByte = 1924
; TotalNumSgprs: 56
; NumVgprs: 52
; NumAgprs: 0
; TotalNumVgprs: 52
; ScratchSize: 0
; MemoryBound: 0
; FloatMode: 240
; IeeeMode: 1
; LDSByteSize: 18432 bytes/workgroup (compile time only)
; SGPRBlocks: 6
; VGPRBlocks: 6
; NumSGPRsForWavesPerEU: 56
; NumVGPRsForWavesPerEU: 52
; AccumOffset: 52
; Occupancy: 8
; WaveLimiterHint : 1
; COMPUTE_PGM_RSRC2:SCRATCH_EN: 0
; COMPUTE_PGM_RSRC2:USER_SGPR: 2
; COMPUTE_PGM_RSRC2:TRAP_HANDLER: 0
; COMPUTE_PGM_RSRC2:TGID_X_EN: 1
; COMPUTE_PGM_RSRC2:TGID_Y_EN: 1
; COMPUTE_PGM_RSRC2:TGID_Z_EN: 0
; COMPUTE_PGM_RSRC2:TIDIG_COMP_CNT: 0
; COMPUTE_PGM_RSRC3_GFX90A:ACCUM_OFFSET: 12
; COMPUTE_PGM_RSRC3_GFX90A:TG_SPLIT: 0
	.section	.text._ZN9rocsolver6v33100L22larf_left_kernel_smallILi512E19rocblas_complex_numIfElPKPS3_EEvT1_S7_T2_lS7_lPKT0_lS8_lS7_l,"axG",@progbits,_ZN9rocsolver6v33100L22larf_left_kernel_smallILi512E19rocblas_complex_numIfElPKPS3_EEvT1_S7_T2_lS7_lPKT0_lS8_lS7_l,comdat
	.globl	_ZN9rocsolver6v33100L22larf_left_kernel_smallILi512E19rocblas_complex_numIfElPKPS3_EEvT1_S7_T2_lS7_lPKT0_lS8_lS7_l ; -- Begin function _ZN9rocsolver6v33100L22larf_left_kernel_smallILi512E19rocblas_complex_numIfElPKPS3_EEvT1_S7_T2_lS7_lPKT0_lS8_lS7_l
	.p2align	8
	.type	_ZN9rocsolver6v33100L22larf_left_kernel_smallILi512E19rocblas_complex_numIfElPKPS3_EEvT1_S7_T2_lS7_lPKT0_lS8_lS7_l,@function
_ZN9rocsolver6v33100L22larf_left_kernel_smallILi512E19rocblas_complex_numIfElPKPS3_EEvT1_S7_T2_lS7_lPKT0_lS8_lS7_l: ; @_ZN9rocsolver6v33100L22larf_left_kernel_smallILi512E19rocblas_complex_numIfElPKPS3_EEvT1_S7_T2_lS7_lPKT0_lS8_lS7_l
; %bb.0:
	s_mov_b32 s28, s3
	s_load_dwordx8 s[12:19], s[0:1], 0x0
	s_load_dwordx2 s[4:5], s[0:1], 0x20
	s_load_dwordx8 s[20:27], s[0:1], 0x30
	s_load_dwordx2 s[8:9], s[0:1], 0x50
	s_mov_b32 s3, 0
	s_lshl_b64 s[0:1], s[2:3], 3
	s_waitcnt lgkmcnt(0)
	s_add_u32 s10, s16, s0
	s_addc_u32 s11, s17, s1
	s_add_u32 s0, s24, s0
	v_cmp_gt_i64_e64 s[6:7], s[4:5], 0
	s_addc_u32 s1, s25, s1
	s_mov_b64 s[16:17], 0
	s_and_b64 vcc, exec, s[6:7]
	s_cbranch_vccnz .LBB33_2
; %bb.1:
	s_sub_u32 s3, 1, s12
	s_subb_u32 s6, 0, s13
	s_mul_i32 s6, s4, s6
	s_mul_hi_u32 s7, s4, s3
	s_add_i32 s6, s7, s6
	s_mul_i32 s7, s5, s3
	s_add_i32 s17, s6, s7
	s_mul_i32 s16, s4, s3
.LBB33_2:
	s_load_dwordx2 s[24:25], s[0:1], 0x0
	v_mov_b32_e32 v1, 0
	v_cmp_gt_i64_e64 s[0:1], s[12:13], v[0:1]
	v_lshlrev_b32_e32 v38, 3, v0
	s_and_saveexec_b64 s[6:7], s[0:1]
	s_cbranch_execz .LBB33_5
; %bb.3:
	s_load_dwordx2 s[10:11], s[10:11], 0x0
	s_lshl_b64 s[16:17], s[16:17], 3
	s_lshl_b64 s[18:19], s[18:19], 3
	v_mad_u64_u32 v[2:3], s[30:31], s4, v0, 0
	s_waitcnt lgkmcnt(0)
	s_add_u32 s3, s10, s18
	v_mov_b32_e32 v4, v3
	s_addc_u32 s11, s11, s19
	v_mad_u64_u32 v[4:5], s[30:31], s5, v0, v[4:5]
	s_add_u32 s10, s3, s16
	v_mov_b32_e32 v3, v4
	s_addc_u32 s11, s11, s17
	v_lshl_add_u64 v[2:3], v[2:3], 3, s[10:11]
	s_lshl_b64 s[4:5], s[4:5], 12
	v_lshlrev_b32_e32 v6, 3, v0
	s_mov_b64 s[10:11], 0
	s_mov_b64 s[16:17], 0x200
	v_mov_b64_e32 v[4:5], v[0:1]
.LBB33_4:                               ; =>This Inner Loop Header: Depth=1
	flat_load_dwordx2 v[8:9], v[2:3]
	v_lshl_add_u64 v[4:5], v[4:5], 0, s[16:17]
	v_cmp_le_i64_e32 vcc, s[12:13], v[4:5]
	v_lshl_add_u64 v[2:3], v[2:3], 0, s[4:5]
	s_or_b64 s[10:11], vcc, s[10:11]
	s_waitcnt vmcnt(0) lgkmcnt(0)
	ds_write_b64 v6, v[8:9]
	v_add_u32_e32 v6, 0x1000, v6
	s_andn2_b64 exec, exec, s[10:11]
	s_cbranch_execnz .LBB33_4
.LBB33_5:
	s_or_b64 exec, exec, s[6:7]
	s_mov_b32 s29, 0
	v_mov_b64_e32 v[2:3], s[28:29]
	v_cmp_le_i64_e32 vcc, s[14:15], v[2:3]
	s_waitcnt lgkmcnt(0)
	s_barrier
	s_cbranch_vccnz .LBB33_34
; %bb.6:
	s_mul_i32 s3, s23, s2
	s_mul_hi_u32 s4, s22, s2
	s_add_i32 s3, s4, s3
	s_mul_i32 s2, s22, s2
	s_lshl_b64 s[2:3], s[2:3], 3
	s_add_u32 s16, s20, s2
	s_addc_u32 s17, s21, s3
	s_cmp_gt_i32 s12, 1
	s_mul_i32 s10, s9, s28
	s_mul_hi_u32 s11, s8, s28
	s_cselect_b64 s[18:19], -1, 0
	v_and_b32_e32 v2, 63, v0
	s_add_i32 s31, s11, s10
	s_mul_i32 s30, s8, s28
	v_cmp_eq_u32_e64 s[4:5], 0, v2
	v_mov_b32_e32 v3, -1
	v_not_b32_e32 v2, v0
	s_add_u32 s10, s30, s26
	v_lshl_add_u64 v[2:3], s[12:13], 0, v[2:3]
	s_addc_u32 s11, s31, s27
	s_lshl_b64 s[20:21], s[8:9], 9
	s_lshl_b64 s[30:31], s[30:31], 3
	;; [unrolled: 1-line block ×3, first 2 shown]
	v_lshrrev_b64 v[6:7], 9, v[2:3]
	s_add_u32 s26, s30, s26
	v_lshl_add_u64 v[4:5], s[10:11], 0, v[0:1]
	v_lshl_add_u64 v[6:7], v[6:7], 0, 1
	s_mov_b32 s10, -1
	s_addc_u32 s27, s31, s27
	v_lshl_add_u64 v[10:11], v[4:5], 3, s[24:25]
	s_brev_b32 s11, -8
	v_and_b32_e32 v14, -2, v6
	v_mov_b32_e32 v15, v7
	v_mov_b32_e32 v18, 0
	s_add_u32 s24, s24, s26
	s_mov_b64 s[8:9], 0x600
	v_cmp_lt_u64_e32 vcc, s[10:11], v[2:3]
	v_lshlrev_b64 v[16:17], 9, v[14:15]
	v_cmp_ne_u64_e64 s[10:11], v[6:7], v[14:15]
	v_lshlrev_b32_e32 v20, 3, v0
	v_mov_b32_e32 v21, v18
	s_addc_u32 s25, s25, s27
	v_mbcnt_lo_u32_b32 v6, -1, 0
	v_lshrrev_b32_e32 v8, 3, v0
	v_cmp_gt_u64_e64 s[22:23], s[8:9], v[2:3]
	s_mov_b64 s[8:9], 0x5ff
	v_lshlrev_b64 v[12:13], 3, v[2:3]
	v_or_b32_e32 v16, v16, v0
	v_lshl_add_u64 v[22:23], s[24:25], 0, v[20:21]
	s_mov_b64 s[26:27], 0x1000
	v_mbcnt_hi_u32_b32 v39, -1, v6
	v_mov_b32_e32 v6, 0x80
	v_cmp_gt_i32_e64 s[2:3], s12, v0
	v_cmp_eq_u32_e64 s[6:7], 0, v0
	v_cmp_lt_u64_e64 s[8:9], s[8:9], v[2:3]
	s_movk_i32 s33, 0xf000
	v_and_b32_e32 v12, 0xfffff000, v12
	v_or_b32_e32 v4, 0x200, v0
	v_mov_b32_e32 v2, v0
	v_mov_b32_e32 v3, v18
	;; [unrolled: 1-line block ×3, first 2 shown]
	v_lshl_add_u64 v[24:25], v[22:23], 0, s[26:27]
	s_mov_b64 s[30:31], 0
	v_and_b32_e32 v40, 63, v39
	v_or_b32_e32 v41, 0x4000, v8
	v_mov_b32_e32 v42, 0x4008
	v_mov_b32_e32 v43, 0x4018
	v_mov_b32_e32 v44, 0x4028
	s_mov_b64 s[34:35], 0x400
	s_mov_b64 s[36:37], 0x2000
	v_lshlrev_b64 v[26:27], 3, v[16:17]
	s_mov_b64 s[38:39], 0x200
	v_mov_b64_e32 v[28:29], s[14:15]
	v_lshl_or_b32 v45, v39, 2, v6
	s_xor_b64 s[14:15], vcc, -1
	s_branch .LBB33_8
.LBB33_7:                               ;   in Loop: Header=BB33_8 Depth=1
	s_or_b64 exec, exec, s[40:41]
	s_add_u32 s28, s28, 64
	s_addc_u32 s29, s29, 0
	s_add_u32 s30, s30, 1
	s_addc_u32 s31, s31, 0
	s_add_u32 s24, s24, s20
	v_cmp_ge_i64_e32 vcc, s[28:29], v[28:29]
	v_lshl_add_u64 v[22:23], v[22:23], 0, s[20:21]
	v_lshl_add_u64 v[24:25], v[24:25], 0, s[20:21]
	s_addc_u32 s25, s25, s21
	s_cbranch_vccnz .LBB33_34
.LBB33_8:                               ; =>This Loop Header: Depth=1
                                        ;     Child Loop BB33_10 Depth 2
                                        ;     Child Loop BB33_26 Depth 2
	;; [unrolled: 1-line block ×3, first 2 shown]
	v_mov_b32_e32 v19, v18
	v_mov_b64_e32 v[6:7], v[18:19]
	s_and_saveexec_b64 s[40:41], s[2:3]
	s_cbranch_execz .LBB33_12
; %bb.9:                                ;   in Loop: Header=BB33_8 Depth=1
	v_mov_b32_e32 v6, 0
	s_mov_b64 s[42:43], 0
	v_mov_b64_e32 v[8:9], v[22:23]
	v_mov_b32_e32 v19, v38
	v_mov_b32_e32 v30, v0
	;; [unrolled: 1-line block ×3, first 2 shown]
.LBB33_10:                              ;   Parent Loop BB33_8 Depth=1
                                        ; =>  This Inner Loop Header: Depth=2
	flat_load_dwordx2 v[32:33], v[8:9]
	ds_read_b64 v[34:35], v19
	v_add_u32_e32 v30, 0x200, v30
	v_cmp_le_i32_e32 vcc, s12, v30
	v_add_u32_e32 v19, 0x1000, v19
	v_lshl_add_u64 v[8:9], v[8:9], 0, s[26:27]
	s_waitcnt lgkmcnt(0)
	v_mov_b32_e32 v36, v35
	s_or_b64 s[42:43], vcc, s[42:43]
	s_waitcnt vmcnt(0)
	v_pk_mul_f32 v[46:47], v[32:33], v[34:35] op_sel_hi:[1,0]
	s_nop 0
	v_pk_fma_f32 v[36:37], v[32:33], v[36:37], v[46:47] op_sel:[1,0,0] op_sel_hi:[0,1,1]
	v_pk_fma_f32 v[32:33], v[32:33], v[34:35], v[46:47] op_sel:[1,1,0] op_sel_hi:[0,1,1] neg_lo:[0,0,1] neg_hi:[0,0,1]
	v_mov_b32_e32 v37, v33
	v_pk_add_f32 v[6:7], v[6:7], v[36:37]
	s_andn2_b64 exec, exec, s[42:43]
	s_cbranch_execnz .LBB33_10
; %bb.11:                               ;   in Loop: Header=BB33_8 Depth=1
	s_or_b64 exec, exec, s[42:43]
.LBB33_12:                              ;   in Loop: Header=BB33_8 Depth=1
	s_or_b64 exec, exec, s[40:41]
	s_and_b64 vcc, exec, s[18:19]
	s_cbranch_vccz .LBB33_19
; %bb.13:                               ;   in Loop: Header=BB33_8 Depth=1
	v_cmp_ne_u32_e32 vcc, 63, v40
	s_nop 1
	v_addc_co_u32_e32 v8, vcc, 0, v39, vcc
	v_lshlrev_b32_e32 v9, 2, v8
	ds_bpermute_b32 v8, v9, v6
	ds_bpermute_b32 v9, v9, v7
	v_cmp_gt_u32_e32 vcc, 62, v40
	s_waitcnt lgkmcnt(0)
	v_pk_add_f32 v[8:9], v[6:7], v[8:9]
	v_cndmask_b32_e64 v19, 0, 2, vcc
	v_add_lshl_u32 v19, v19, v39, 2
	ds_bpermute_b32 v30, v19, v8
	ds_bpermute_b32 v31, v19, v9
	v_cmp_gt_u32_e32 vcc, 60, v40
	s_waitcnt lgkmcnt(0)
	v_pk_add_f32 v[8:9], v[8:9], v[30:31]
	v_cndmask_b32_e64 v19, 0, 4, vcc
	v_add_lshl_u32 v19, v19, v39, 2
	;; [unrolled: 7-line block ×4, first 2 shown]
	ds_bpermute_b32 v30, v19, v8
	ds_bpermute_b32 v31, v19, v9
	s_waitcnt lgkmcnt(0)
	v_pk_add_f32 v[8:9], v[8:9], v[30:31]
	ds_bpermute_b32 v30, v45, v8
	ds_bpermute_b32 v31, v45, v9
	s_waitcnt lgkmcnt(0)
	v_pk_add_f32 v[8:9], v[8:9], v[30:31]
	s_and_saveexec_b64 s[40:41], s[4:5]
; %bb.14:                               ;   in Loop: Header=BB33_8 Depth=1
	ds_write2_b32 v41, v8, v9 offset1:1
; %bb.15:                               ;   in Loop: Header=BB33_8 Depth=1
	s_or_b64 exec, exec, s[40:41]
	s_mov_b64 s[42:43], 0
	s_mov_b64 s[40:41], 0
	s_waitcnt lgkmcnt(0)
	s_barrier
                                        ; implicit-def: $vgpr30_vgpr31
	s_and_saveexec_b64 s[44:45], s[6:7]
	s_xor_b64 s[44:45], exec, s[44:45]
	s_cbranch_execz .LBB33_17
; %bb.16:                               ;   in Loop: Header=BB33_8 Depth=1
	ds_read2_b64 v[30:33], v42 offset1:1
	ds_read2_b64 v[34:37], v43 offset1:1
	;; [unrolled: 1-line block ×3, first 2 shown]
	ds_read_b64 v[50:51], v18 offset:16440
	s_mov_b64 s[40:41], exec
	s_waitcnt lgkmcnt(0)
	v_pk_add_f32 v[8:9], v[8:9], v[30:31]
	s_nop 0
	v_pk_add_f32 v[8:9], v[8:9], v[32:33]
	s_waitcnt lgkmcnt(2)
	v_pk_add_f32 v[8:9], v[8:9], v[34:35]
	s_nop 0
	v_pk_add_f32 v[8:9], v[8:9], v[36:37]
	;; [unrolled: 4-line block ×3, first 2 shown]
	s_waitcnt lgkmcnt(0)
	v_pk_add_f32 v[30:31], v[8:9], v[50:51]
.LBB33_17:                              ;   in Loop: Header=BB33_8 Depth=1
	s_or_b64 exec, exec, s[44:45]
	s_and_b64 vcc, exec, s[42:43]
	s_cbranch_vccnz .LBB33_20
.LBB33_18:                              ;   in Loop: Header=BB33_8 Depth=1
	v_mov_b64_e32 v[6:7], v[30:31]
	s_and_saveexec_b64 s[42:43], s[40:41]
	s_cbranch_execnz .LBB33_21
	s_branch .LBB33_22
.LBB33_19:                              ;   in Loop: Header=BB33_8 Depth=1
	s_mov_b64 s[40:41], 0
                                        ; implicit-def: $vgpr30_vgpr31
	s_cbranch_execz .LBB33_18
.LBB33_20:                              ;   in Loop: Header=BB33_8 Depth=1
	s_andn2_b64 s[40:41], s[40:41], exec
	s_and_b64 s[42:43], s[6:7], exec
	s_or_b64 s[40:41], s[40:41], s[42:43]
	s_and_saveexec_b64 s[42:43], s[40:41]
.LBB33_21:                              ;   in Loop: Header=BB33_8 Depth=1
	ds_write_b64 v18, v[6:7] offset:16384
.LBB33_22:                              ;   in Loop: Header=BB33_8 Depth=1
	s_or_b64 exec, exec, s[42:43]
	s_waitcnt lgkmcnt(0)
	s_barrier
	s_and_saveexec_b64 s[40:41], s[0:1]
	s_cbranch_execz .LBB33_7
; %bb.23:                               ;   in Loop: Header=BB33_8 Depth=1
	global_load_dwordx2 v[8:9], v18, s[16:17]
	ds_read_b64 v[30:31], v18 offset:16384
	s_mov_b64 s[44:45], s[22:23]
	v_mov_b64_e32 v[6:7], v[0:1]
	s_waitcnt vmcnt(0) lgkmcnt(0)
	v_mul_f32_e32 v19, v9, v31
	v_mul_f32_e32 v9, v9, v30
	v_fma_f32 v30, v30, -v8, -v19
	v_fma_f32 v32, v8, v31, -v9
	v_mov_b64_e32 v[8:9], v[20:21]
	s_and_saveexec_b64 s[42:43], s[8:9]
	s_cbranch_execz .LBB33_31
; %bb.24:                               ;   in Loop: Header=BB33_8 Depth=1
	s_mul_i32 s44, s21, s30
	s_mul_i32 s45, s20, s31
	v_mov_b32_e32 v6, s30
	s_add_i32 s46, s45, s44
	v_mad_u64_u32 v[6:7], s[44:45], s20, v6, v[10:11]
	v_add_u32_e32 v7, s46, v7
	v_lshl_add_u64 v[8:9], v[6:7], 0, v[12:13]
	v_cmp_ge_u64_e32 vcc, v[8:9], v[6:7]
	s_mov_b64 s[46:47], -1
	s_and_b64 s[48:49], vcc, s[14:15]
	v_mov_b64_e32 v[6:7], v[0:1]
	v_mov_b64_e32 v[8:9], v[20:21]
	s_and_saveexec_b64 s[44:45], s[48:49]
	s_cbranch_execz .LBB33_30
; %bb.25:                               ;   in Loop: Header=BB33_8 Depth=1
	v_mov_b64_e32 v[8:9], v[4:5]
	v_mov_b32_e32 v31, v30
	v_mov_b32_e32 v33, v32
	s_mov_b64 s[46:47], 0
	v_mov_b64_e32 v[34:35], v[14:15]
	v_mov_b64_e32 v[36:37], v[24:25]
	;; [unrolled: 1-line block ×3, first 2 shown]
.LBB33_26:                              ;   Parent Loop BB33_8 Depth=1
                                        ; =>  This Inner Loop Header: Depth=2
	v_add_co_u32_e32 v46, vcc, s33, v36
	v_lshlrev_b32_e32 v19, 3, v6
	s_nop 0
	v_addc_co_u32_e32 v47, vcc, -1, v37, vcc
	flat_load_dwordx2 v[48:49], v[46:47]
	flat_load_dwordx2 v[50:51], v[36:37]
	v_lshlrev_b32_e32 v54, 3, v8
	ds_read_b64 v[52:53], v19
	ds_read_b64 v[54:55], v54
	v_lshl_add_u64 v[34:35], v[34:35], 0, -2
	v_cmp_eq_u64_e32 vcc, 0, v[34:35]
	v_lshl_add_u64 v[8:9], v[8:9], 0, s[34:35]
	s_waitcnt lgkmcnt(0)
	v_mov_b32_e32 v56, v52
	v_mov_b32_e32 v57, v54
	;; [unrolled: 1-line block ×3, first 2 shown]
	v_pk_mul_f32 v[52:53], v[32:33], v[54:55]
	v_pk_mul_f32 v[54:55], v[30:31], v[54:55]
	v_pk_fma_f32 v[52:53], v[30:31], v[56:57], v[52:53] neg_lo:[0,0,1] neg_hi:[0,0,1]
	v_pk_fma_f32 v[54:55], v[32:33], v[56:57], v[54:55]
	v_lshl_add_u64 v[6:7], v[6:7], 0, s[34:35]
	s_or_b64 s[46:47], vcc, s[46:47]
	s_waitcnt vmcnt(0)
	v_mov_b32_e32 v56, v48
	v_mov_b32_e32 v57, v50
	;; [unrolled: 1-line block ×3, first 2 shown]
	v_pk_add_f32 v[48:49], v[56:57], v[52:53]
	v_pk_add_f32 v[50:51], v[54:55], v[50:51]
	v_mov_b32_e32 v52, v48
	v_mov_b32_e32 v53, v50
	;; [unrolled: 1-line block ×3, first 2 shown]
	flat_store_dwordx2 v[46:47], v[52:53]
	flat_store_dwordx2 v[36:37], v[50:51]
	v_lshl_add_u64 v[36:37], v[36:37], 0, s[36:37]
	s_andn2_b64 exec, exec, s[46:47]
	s_cbranch_execnz .LBB33_26
; %bb.27:                               ;   in Loop: Header=BB33_8 Depth=1
	s_or_b64 exec, exec, s[46:47]
	s_mov_b64 s[46:47], 0
	s_and_saveexec_b64 s[48:49], s[10:11]
; %bb.28:                               ;   in Loop: Header=BB33_8 Depth=1
	s_mov_b64 s[46:47], exec
; %bb.29:                               ;   in Loop: Header=BB33_8 Depth=1
	s_or_b64 exec, exec, s[48:49]
	s_orn2_b64 s[46:47], s[46:47], exec
	v_mov_b64_e32 v[6:7], v[16:17]
	v_mov_b64_e32 v[8:9], v[26:27]
.LBB33_30:                              ;   in Loop: Header=BB33_8 Depth=1
	s_or_b64 exec, exec, s[44:45]
	s_andn2_b64 s[44:45], s[22:23], exec
	s_and_b64 s[46:47], s[46:47], exec
	s_or_b64 s[44:45], s[44:45], s[46:47]
.LBB33_31:                              ;   in Loop: Header=BB33_8 Depth=1
	s_or_b64 exec, exec, s[42:43]
	s_and_b64 exec, exec, s[44:45]
	s_cbranch_execz .LBB33_7
; %bb.32:                               ;   in Loop: Header=BB33_8 Depth=1
	v_mov_b32_e32 v33, v32
	v_mov_b32_e32 v31, v30
	v_lshlrev_b32_e32 v19, 3, v6
	v_lshl_add_u64 v[8:9], s[24:25], 0, v[8:9]
	s_mov_b64 s[42:43], 0
.LBB33_33:                              ;   Parent Loop BB33_8 Depth=1
                                        ; =>  This Inner Loop Header: Depth=2
	flat_load_dwordx2 v[34:35], v[8:9]
	ds_read_b64 v[36:37], v19
	v_lshl_add_u64 v[6:7], v[6:7], 0, s[38:39]
	v_cmp_le_i64_e32 vcc, s[12:13], v[6:7]
	v_add_u32_e32 v19, 0x1000, v19
	s_or_b64 s[42:43], vcc, s[42:43]
	s_waitcnt lgkmcnt(0)
	v_pk_mul_f32 v[46:47], v[32:33], v[36:37] op_sel:[0,1] op_sel_hi:[1,0]
	s_nop 0
	v_pk_fma_f32 v[48:49], v[30:31], v[36:37], v[46:47] neg_lo:[0,0,1] neg_hi:[0,0,1]
	v_pk_fma_f32 v[36:37], v[30:31], v[36:37], v[46:47]
	s_nop 0
	v_mov_b32_e32 v49, v37
	s_waitcnt vmcnt(0)
	v_pk_add_f32 v[34:35], v[34:35], v[48:49]
	flat_store_dwordx2 v[8:9], v[34:35]
	v_lshl_add_u64 v[8:9], v[8:9], 0, s[26:27]
	s_andn2_b64 exec, exec, s[42:43]
	s_cbranch_execnz .LBB33_33
	s_branch .LBB33_7
.LBB33_34:
	s_endpgm
	.section	.rodata,"a",@progbits
	.p2align	6, 0x0
	.amdhsa_kernel _ZN9rocsolver6v33100L22larf_left_kernel_smallILi512E19rocblas_complex_numIfElPKPS3_EEvT1_S7_T2_lS7_lPKT0_lS8_lS7_l
		.amdhsa_group_segment_fixed_size 20480
		.amdhsa_private_segment_fixed_size 0
		.amdhsa_kernarg_size 96
		.amdhsa_user_sgpr_count 2
		.amdhsa_user_sgpr_dispatch_ptr 0
		.amdhsa_user_sgpr_queue_ptr 0
		.amdhsa_user_sgpr_kernarg_segment_ptr 1
		.amdhsa_user_sgpr_dispatch_id 0
		.amdhsa_user_sgpr_kernarg_preload_length 0
		.amdhsa_user_sgpr_kernarg_preload_offset 0
		.amdhsa_user_sgpr_private_segment_size 0
		.amdhsa_uses_dynamic_stack 0
		.amdhsa_enable_private_segment 0
		.amdhsa_system_sgpr_workgroup_id_x 1
		.amdhsa_system_sgpr_workgroup_id_y 1
		.amdhsa_system_sgpr_workgroup_id_z 0
		.amdhsa_system_sgpr_workgroup_info 0
		.amdhsa_system_vgpr_workitem_id 0
		.amdhsa_next_free_vgpr 58
		.amdhsa_next_free_sgpr 50
		.amdhsa_accum_offset 60
		.amdhsa_reserve_vcc 1
		.amdhsa_float_round_mode_32 0
		.amdhsa_float_round_mode_16_64 0
		.amdhsa_float_denorm_mode_32 3
		.amdhsa_float_denorm_mode_16_64 3
		.amdhsa_dx10_clamp 1
		.amdhsa_ieee_mode 1
		.amdhsa_fp16_overflow 0
		.amdhsa_tg_split 0
		.amdhsa_exception_fp_ieee_invalid_op 0
		.amdhsa_exception_fp_denorm_src 0
		.amdhsa_exception_fp_ieee_div_zero 0
		.amdhsa_exception_fp_ieee_overflow 0
		.amdhsa_exception_fp_ieee_underflow 0
		.amdhsa_exception_fp_ieee_inexact 0
		.amdhsa_exception_int_div_zero 0
	.end_amdhsa_kernel
	.section	.text._ZN9rocsolver6v33100L22larf_left_kernel_smallILi512E19rocblas_complex_numIfElPKPS3_EEvT1_S7_T2_lS7_lPKT0_lS8_lS7_l,"axG",@progbits,_ZN9rocsolver6v33100L22larf_left_kernel_smallILi512E19rocblas_complex_numIfElPKPS3_EEvT1_S7_T2_lS7_lPKT0_lS8_lS7_l,comdat
.Lfunc_end33:
	.size	_ZN9rocsolver6v33100L22larf_left_kernel_smallILi512E19rocblas_complex_numIfElPKPS3_EEvT1_S7_T2_lS7_lPKT0_lS8_lS7_l, .Lfunc_end33-_ZN9rocsolver6v33100L22larf_left_kernel_smallILi512E19rocblas_complex_numIfElPKPS3_EEvT1_S7_T2_lS7_lPKT0_lS8_lS7_l
                                        ; -- End function
	.set _ZN9rocsolver6v33100L22larf_left_kernel_smallILi512E19rocblas_complex_numIfElPKPS3_EEvT1_S7_T2_lS7_lPKT0_lS8_lS7_l.num_vgpr, 58
	.set _ZN9rocsolver6v33100L22larf_left_kernel_smallILi512E19rocblas_complex_numIfElPKPS3_EEvT1_S7_T2_lS7_lPKT0_lS8_lS7_l.num_agpr, 0
	.set _ZN9rocsolver6v33100L22larf_left_kernel_smallILi512E19rocblas_complex_numIfElPKPS3_EEvT1_S7_T2_lS7_lPKT0_lS8_lS7_l.numbered_sgpr, 50
	.set _ZN9rocsolver6v33100L22larf_left_kernel_smallILi512E19rocblas_complex_numIfElPKPS3_EEvT1_S7_T2_lS7_lPKT0_lS8_lS7_l.num_named_barrier, 0
	.set _ZN9rocsolver6v33100L22larf_left_kernel_smallILi512E19rocblas_complex_numIfElPKPS3_EEvT1_S7_T2_lS7_lPKT0_lS8_lS7_l.private_seg_size, 0
	.set _ZN9rocsolver6v33100L22larf_left_kernel_smallILi512E19rocblas_complex_numIfElPKPS3_EEvT1_S7_T2_lS7_lPKT0_lS8_lS7_l.uses_vcc, 1
	.set _ZN9rocsolver6v33100L22larf_left_kernel_smallILi512E19rocblas_complex_numIfElPKPS3_EEvT1_S7_T2_lS7_lPKT0_lS8_lS7_l.uses_flat_scratch, 0
	.set _ZN9rocsolver6v33100L22larf_left_kernel_smallILi512E19rocblas_complex_numIfElPKPS3_EEvT1_S7_T2_lS7_lPKT0_lS8_lS7_l.has_dyn_sized_stack, 0
	.set _ZN9rocsolver6v33100L22larf_left_kernel_smallILi512E19rocblas_complex_numIfElPKPS3_EEvT1_S7_T2_lS7_lPKT0_lS8_lS7_l.has_recursion, 0
	.set _ZN9rocsolver6v33100L22larf_left_kernel_smallILi512E19rocblas_complex_numIfElPKPS3_EEvT1_S7_T2_lS7_lPKT0_lS8_lS7_l.has_indirect_call, 0
	.section	.AMDGPU.csdata,"",@progbits
; Kernel info:
; codeLenInByte = 2056
; TotalNumSgprs: 56
; NumVgprs: 58
; NumAgprs: 0
; TotalNumVgprs: 58
; ScratchSize: 0
; MemoryBound: 0
; FloatMode: 240
; IeeeMode: 1
; LDSByteSize: 20480 bytes/workgroup (compile time only)
; SGPRBlocks: 6
; VGPRBlocks: 7
; NumSGPRsForWavesPerEU: 56
; NumVGPRsForWavesPerEU: 58
; AccumOffset: 60
; Occupancy: 8
; WaveLimiterHint : 1
; COMPUTE_PGM_RSRC2:SCRATCH_EN: 0
; COMPUTE_PGM_RSRC2:USER_SGPR: 2
; COMPUTE_PGM_RSRC2:TRAP_HANDLER: 0
; COMPUTE_PGM_RSRC2:TGID_X_EN: 1
; COMPUTE_PGM_RSRC2:TGID_Y_EN: 1
; COMPUTE_PGM_RSRC2:TGID_Z_EN: 0
; COMPUTE_PGM_RSRC2:TIDIG_COMP_CNT: 0
; COMPUTE_PGM_RSRC3_GFX90A:ACCUM_OFFSET: 14
; COMPUTE_PGM_RSRC3_GFX90A:TG_SPLIT: 0
	.section	.text._ZN9rocsolver6v33100L22larf_left_kernel_smallILi1024E19rocblas_complex_numIfElPKPS3_EEvT1_S7_T2_lS7_lPKT0_lS8_lS7_l,"axG",@progbits,_ZN9rocsolver6v33100L22larf_left_kernel_smallILi1024E19rocblas_complex_numIfElPKPS3_EEvT1_S7_T2_lS7_lPKT0_lS8_lS7_l,comdat
	.globl	_ZN9rocsolver6v33100L22larf_left_kernel_smallILi1024E19rocblas_complex_numIfElPKPS3_EEvT1_S7_T2_lS7_lPKT0_lS8_lS7_l ; -- Begin function _ZN9rocsolver6v33100L22larf_left_kernel_smallILi1024E19rocblas_complex_numIfElPKPS3_EEvT1_S7_T2_lS7_lPKT0_lS8_lS7_l
	.p2align	8
	.type	_ZN9rocsolver6v33100L22larf_left_kernel_smallILi1024E19rocblas_complex_numIfElPKPS3_EEvT1_S7_T2_lS7_lPKT0_lS8_lS7_l,@function
_ZN9rocsolver6v33100L22larf_left_kernel_smallILi1024E19rocblas_complex_numIfElPKPS3_EEvT1_S7_T2_lS7_lPKT0_lS8_lS7_l: ; @_ZN9rocsolver6v33100L22larf_left_kernel_smallILi1024E19rocblas_complex_numIfElPKPS3_EEvT1_S7_T2_lS7_lPKT0_lS8_lS7_l
; %bb.0:
	s_mov_b32 s28, s3
	s_load_dwordx8 s[12:19], s[0:1], 0x0
	s_load_dwordx2 s[4:5], s[0:1], 0x20
	s_load_dwordx8 s[20:27], s[0:1], 0x30
	s_load_dwordx2 s[8:9], s[0:1], 0x50
	s_mov_b32 s3, 0
	s_lshl_b64 s[0:1], s[2:3], 3
	s_waitcnt lgkmcnt(0)
	s_add_u32 s10, s16, s0
	s_addc_u32 s11, s17, s1
	s_add_u32 s0, s24, s0
	v_cmp_gt_i64_e64 s[6:7], s[4:5], 0
	s_addc_u32 s1, s25, s1
	s_mov_b64 s[16:17], 0
	s_and_b64 vcc, exec, s[6:7]
	s_cbranch_vccnz .LBB34_2
; %bb.1:
	s_sub_u32 s3, 1, s12
	s_subb_u32 s6, 0, s13
	s_mul_i32 s6, s4, s6
	s_mul_hi_u32 s7, s4, s3
	s_add_i32 s6, s7, s6
	s_mul_i32 s7, s5, s3
	s_add_i32 s17, s6, s7
	s_mul_i32 s16, s4, s3
.LBB34_2:
	s_load_dwordx2 s[24:25], s[0:1], 0x0
	v_mov_b32_e32 v1, 0
	v_cmp_gt_i64_e64 s[0:1], s[12:13], v[0:1]
	v_lshlrev_b32_e32 v32, 3, v0
	s_and_saveexec_b64 s[6:7], s[0:1]
	s_cbranch_execz .LBB34_5
; %bb.3:
	s_load_dwordx2 s[10:11], s[10:11], 0x0
	s_lshl_b64 s[16:17], s[16:17], 3
	s_lshl_b64 s[18:19], s[18:19], 3
	v_mad_u64_u32 v[2:3], s[30:31], s4, v0, 0
	s_waitcnt lgkmcnt(0)
	s_add_u32 s3, s10, s18
	v_mov_b32_e32 v4, v3
	s_addc_u32 s11, s11, s19
	v_mad_u64_u32 v[4:5], s[30:31], s5, v0, v[4:5]
	s_add_u32 s10, s3, s16
	v_mov_b32_e32 v3, v4
	s_addc_u32 s11, s11, s17
	v_lshl_add_u64 v[2:3], v[2:3], 3, s[10:11]
	s_lshl_b64 s[4:5], s[4:5], 13
	v_lshlrev_b32_e32 v6, 3, v0
	s_mov_b64 s[10:11], 0
	s_mov_b64 s[16:17], 0x400
	v_mov_b64_e32 v[4:5], v[0:1]
.LBB34_4:                               ; =>This Inner Loop Header: Depth=1
	flat_load_dwordx2 v[8:9], v[2:3]
	v_lshl_add_u64 v[4:5], v[4:5], 0, s[16:17]
	v_cmp_le_i64_e32 vcc, s[12:13], v[4:5]
	v_lshl_add_u64 v[2:3], v[2:3], 0, s[4:5]
	s_or_b64 s[10:11], vcc, s[10:11]
	s_waitcnt vmcnt(0) lgkmcnt(0)
	ds_write_b64 v6, v[8:9]
	v_add_u32_e32 v6, 0x2000, v6
	s_andn2_b64 exec, exec, s[10:11]
	s_cbranch_execnz .LBB34_4
.LBB34_5:
	s_or_b64 exec, exec, s[6:7]
	s_mov_b32 s29, 0
	v_mov_b64_e32 v[2:3], s[28:29]
	v_cmp_le_i64_e32 vcc, s[14:15], v[2:3]
	s_waitcnt lgkmcnt(0)
	s_barrier
	s_cbranch_vccnz .LBB34_34
; %bb.6:
	s_mul_i32 s3, s23, s2
	s_mul_hi_u32 s4, s22, s2
	s_add_i32 s3, s4, s3
	s_mul_i32 s2, s22, s2
	s_lshl_b64 s[2:3], s[2:3], 3
	s_add_u32 s16, s20, s2
	s_addc_u32 s17, s21, s3
	s_cmp_gt_i32 s12, 1
	s_mul_i32 s10, s9, s28
	s_mul_hi_u32 s11, s8, s28
	s_cselect_b64 s[18:19], -1, 0
	s_add_i32 s31, s11, s10
	s_mul_i32 s30, s8, s28
	v_and_b32_e32 v2, 63, v0
	s_add_u32 s10, s30, s26
	v_cmp_eq_u32_e64 s[4:5], 0, v2
	v_mov_b32_e32 v3, -1
	v_not_b32_e32 v2, v0
	s_addc_u32 s11, s31, s27
	s_lshl_b64 s[20:21], s[8:9], 9
	s_lshl_b64 s[30:31], s[30:31], 3
	;; [unrolled: 1-line block ×3, first 2 shown]
	v_lshl_add_u64 v[2:3], s[12:13], 0, v[2:3]
	s_add_u32 s26, s30, s26
	v_lshl_add_u64 v[4:5], s[10:11], 0, v[0:1]
	v_lshrrev_b64 v[6:7], 10, v[2:3]
	s_addc_u32 s27, s31, s27
	v_lshl_add_u64 v[6:7], v[6:7], 0, 1
	v_lshl_add_u64 v[8:9], v[4:5], 3, s[24:25]
	s_mov_b32 s10, -1
	v_mov_b32_e32 v18, 0
	s_add_u32 s24, s24, s26
	s_mov_b64 s[8:9], 0xc00
	s_brev_b32 s11, -8
	v_and_b32_e32 v12, -2, v6
	v_mov_b32_e32 v13, v7
	v_lshlrev_b32_e32 v16, 3, v0
	v_mov_b32_e32 v17, v18
	s_addc_u32 s25, s25, s27
	v_mbcnt_lo_u32_b32 v4, -1, 0
	v_lshrrev_b32_e32 v19, 3, v0
	v_cmp_gt_u64_e64 s[22:23], s[8:9], v[2:3]
	s_mov_b64 s[8:9], 0xbff
	v_lshlrev_b64 v[10:11], 3, v[2:3]
	v_cmp_lt_u64_e32 vcc, s[10:11], v[2:3]
	v_lshlrev_b64 v[14:15], 10, v[12:13]
	v_lshl_add_u64 v[20:21], s[24:25], 0, v[16:17]
	s_mov_b64 s[26:27], 0x2000
	v_mbcnt_hi_u32_b32 v33, -1, v4
	v_mov_b32_e32 v4, 0x80
	v_cmp_gt_i32_e64 s[2:3], s12, v0
	v_cmp_eq_u32_e64 s[6:7], 0, v0
	v_cmp_lt_u64_e64 s[8:9], s[8:9], v[2:3]
	s_movk_i32 s33, 0xe000
	v_and_b32_e32 v10, 0xffffe000, v10
	v_or_b32_e32 v14, v14, v0
	v_or_b32_e32 v2, 0x400, v0
	v_mov_b32_e32 v3, v1
	v_cmp_ne_u64_e64 s[10:11], v[6:7], v[12:13]
	v_lshl_add_u64 v[22:23], v[20:21], 0, s[26:27]
	s_mov_b64 s[30:31], 0
	v_and_b32_e32 v34, 63, v33
	v_or_b32_e32 v35, 0x4000, v19
	v_mov_b32_e32 v36, 0x4008
	v_mov_b32_e32 v37, 0x4018
	;; [unrolled: 1-line block ×7, first 2 shown]
	s_mov_b64 s[34:35], 0x800
	s_mov_b64 s[36:37], 0x4000
	;; [unrolled: 1-line block ×3, first 2 shown]
	v_lshl_or_b32 v43, v33, 2, v4
	s_xor_b64 s[40:41], vcc, -1
	s_branch .LBB34_8
.LBB34_7:                               ;   in Loop: Header=BB34_8 Depth=1
	s_or_b64 exec, exec, s[42:43]
	s_add_u32 s28, s28, 64
	s_addc_u32 s29, s29, 0
	s_add_u32 s30, s30, 1
	s_addc_u32 s31, s31, 0
	v_mov_b64_e32 v[4:5], s[14:15]
	s_add_u32 s24, s24, s20
	v_cmp_ge_i64_e32 vcc, s[28:29], v[4:5]
	v_lshl_add_u64 v[20:21], v[20:21], 0, s[20:21]
	v_lshl_add_u64 v[22:23], v[22:23], 0, s[20:21]
	s_addc_u32 s25, s25, s21
	s_cbranch_vccnz .LBB34_34
.LBB34_8:                               ; =>This Loop Header: Depth=1
                                        ;     Child Loop BB34_10 Depth 2
                                        ;     Child Loop BB34_26 Depth 2
	;; [unrolled: 1-line block ×3, first 2 shown]
	v_mov_b32_e32 v19, v18
	v_mov_b64_e32 v[4:5], v[18:19]
	s_and_saveexec_b64 s[42:43], s[2:3]
	s_cbranch_execz .LBB34_12
; %bb.9:                                ;   in Loop: Header=BB34_8 Depth=1
	v_mov_b32_e32 v4, 0
	s_mov_b64 s[44:45], 0
	v_mov_b64_e32 v[6:7], v[20:21]
	v_mov_b32_e32 v19, v32
	v_mov_b32_e32 v24, v0
	v_mov_b32_e32 v5, v4
.LBB34_10:                              ;   Parent Loop BB34_8 Depth=1
                                        ; =>  This Inner Loop Header: Depth=2
	flat_load_dwordx2 v[26:27], v[6:7]
	ds_read_b64 v[28:29], v19
	v_add_u32_e32 v24, 0x400, v24
	v_cmp_le_i32_e32 vcc, s12, v24
	v_add_u32_e32 v19, 0x2000, v19
	v_lshl_add_u64 v[6:7], v[6:7], 0, s[26:27]
	s_waitcnt lgkmcnt(0)
	v_mov_b32_e32 v30, v29
	s_or_b64 s[44:45], vcc, s[44:45]
	s_waitcnt vmcnt(0)
	v_pk_mul_f32 v[44:45], v[26:27], v[28:29] op_sel_hi:[1,0]
	s_nop 0
	v_pk_fma_f32 v[30:31], v[26:27], v[30:31], v[44:45] op_sel:[1,0,0] op_sel_hi:[0,1,1]
	v_pk_fma_f32 v[26:27], v[26:27], v[28:29], v[44:45] op_sel:[1,1,0] op_sel_hi:[0,1,1] neg_lo:[0,0,1] neg_hi:[0,0,1]
	v_mov_b32_e32 v31, v27
	v_pk_add_f32 v[4:5], v[4:5], v[30:31]
	s_andn2_b64 exec, exec, s[44:45]
	s_cbranch_execnz .LBB34_10
; %bb.11:                               ;   in Loop: Header=BB34_8 Depth=1
	s_or_b64 exec, exec, s[44:45]
.LBB34_12:                              ;   in Loop: Header=BB34_8 Depth=1
	s_or_b64 exec, exec, s[42:43]
	s_and_b64 vcc, exec, s[18:19]
	s_cbranch_vccz .LBB34_19
; %bb.13:                               ;   in Loop: Header=BB34_8 Depth=1
	v_cmp_ne_u32_e32 vcc, 63, v34
	s_nop 1
	v_addc_co_u32_e32 v6, vcc, 0, v33, vcc
	v_lshlrev_b32_e32 v7, 2, v6
	ds_bpermute_b32 v6, v7, v4
	ds_bpermute_b32 v7, v7, v5
	v_cmp_gt_u32_e32 vcc, 62, v34
	s_waitcnt lgkmcnt(0)
	v_pk_add_f32 v[6:7], v[4:5], v[6:7]
	v_cndmask_b32_e64 v19, 0, 2, vcc
	v_add_lshl_u32 v19, v19, v33, 2
	ds_bpermute_b32 v24, v19, v6
	ds_bpermute_b32 v25, v19, v7
	v_cmp_gt_u32_e32 vcc, 60, v34
	s_waitcnt lgkmcnt(0)
	v_pk_add_f32 v[6:7], v[6:7], v[24:25]
	v_cndmask_b32_e64 v19, 0, 4, vcc
	v_add_lshl_u32 v19, v19, v33, 2
	;; [unrolled: 7-line block ×4, first 2 shown]
	ds_bpermute_b32 v24, v19, v6
	ds_bpermute_b32 v25, v19, v7
	s_waitcnt lgkmcnt(0)
	v_pk_add_f32 v[6:7], v[6:7], v[24:25]
	ds_bpermute_b32 v24, v43, v6
	ds_bpermute_b32 v25, v43, v7
	s_waitcnt lgkmcnt(0)
	v_pk_add_f32 v[6:7], v[6:7], v[24:25]
	s_and_saveexec_b64 s[42:43], s[4:5]
; %bb.14:                               ;   in Loop: Header=BB34_8 Depth=1
	ds_write2_b32 v35, v6, v7 offset1:1
; %bb.15:                               ;   in Loop: Header=BB34_8 Depth=1
	s_or_b64 exec, exec, s[42:43]
	s_mov_b64 s[44:45], 0
	s_mov_b64 s[42:43], 0
	s_waitcnt lgkmcnt(0)
	s_barrier
                                        ; implicit-def: $vgpr24_vgpr25
	s_and_saveexec_b64 s[46:47], s[6:7]
	s_xor_b64 s[46:47], exec, s[46:47]
	s_cbranch_execz .LBB34_17
; %bb.16:                               ;   in Loop: Header=BB34_8 Depth=1
	ds_read2_b64 v[24:27], v36 offset1:1
	ds_read2_b64 v[28:31], v37 offset1:1
	;; [unrolled: 1-line block ×3, first 2 shown]
	ds_read_b64 v[48:49], v18 offset:16504
	s_mov_b64 s[42:43], exec
	s_waitcnt lgkmcnt(0)
	v_pk_add_f32 v[6:7], v[6:7], v[24:25]
	s_nop 0
	v_pk_add_f32 v[6:7], v[6:7], v[26:27]
	ds_read2_b64 v[24:27], v39 offset1:1
	s_waitcnt lgkmcnt(3)
	v_pk_add_f32 v[6:7], v[6:7], v[28:29]
	s_nop 0
	v_pk_add_f32 v[6:7], v[6:7], v[30:31]
	ds_read2_b64 v[28:31], v40 offset1:1
	;; [unrolled: 5-line block ×4, first 2 shown]
	s_waitcnt lgkmcnt(2)
	v_pk_add_f32 v[6:7], v[6:7], v[28:29]
	s_nop 0
	v_pk_add_f32 v[6:7], v[6:7], v[30:31]
	s_waitcnt lgkmcnt(1)
	v_pk_add_f32 v[6:7], v[6:7], v[44:45]
	s_nop 0
	v_pk_add_f32 v[6:7], v[6:7], v[46:47]
	;; [unrolled: 4-line block ×3, first 2 shown]
	s_nop 0
	v_pk_add_f32 v[24:25], v[6:7], v[48:49]
.LBB34_17:                              ;   in Loop: Header=BB34_8 Depth=1
	s_or_b64 exec, exec, s[46:47]
	s_and_b64 vcc, exec, s[44:45]
	s_cbranch_vccnz .LBB34_20
.LBB34_18:                              ;   in Loop: Header=BB34_8 Depth=1
	v_mov_b64_e32 v[4:5], v[24:25]
	s_and_saveexec_b64 s[44:45], s[42:43]
	s_cbranch_execnz .LBB34_21
	s_branch .LBB34_22
.LBB34_19:                              ;   in Loop: Header=BB34_8 Depth=1
	s_mov_b64 s[42:43], 0
                                        ; implicit-def: $vgpr24_vgpr25
	s_cbranch_execz .LBB34_18
.LBB34_20:                              ;   in Loop: Header=BB34_8 Depth=1
	s_andn2_b64 s[42:43], s[42:43], exec
	s_and_b64 s[44:45], s[6:7], exec
	s_or_b64 s[42:43], s[42:43], s[44:45]
	s_and_saveexec_b64 s[44:45], s[42:43]
.LBB34_21:                              ;   in Loop: Header=BB34_8 Depth=1
	ds_write_b64 v18, v[4:5] offset:16384
.LBB34_22:                              ;   in Loop: Header=BB34_8 Depth=1
	s_or_b64 exec, exec, s[44:45]
	s_waitcnt lgkmcnt(0)
	s_barrier
	s_and_saveexec_b64 s[42:43], s[0:1]
	s_cbranch_execz .LBB34_7
; %bb.23:                               ;   in Loop: Header=BB34_8 Depth=1
	global_load_dwordx2 v[6:7], v18, s[16:17]
	ds_read_b64 v[24:25], v18 offset:16384
	s_mov_b64 s[46:47], s[22:23]
	v_mov_b64_e32 v[4:5], v[0:1]
	s_waitcnt vmcnt(0) lgkmcnt(0)
	v_mul_f32_e32 v19, v7, v25
	v_mul_f32_e32 v7, v7, v24
	v_fma_f32 v24, v24, -v6, -v19
	v_fma_f32 v26, v6, v25, -v7
	v_mov_b64_e32 v[6:7], v[16:17]
	s_and_saveexec_b64 s[44:45], s[8:9]
	s_cbranch_execz .LBB34_31
; %bb.24:                               ;   in Loop: Header=BB34_8 Depth=1
	s_mul_i32 s46, s21, s30
	s_mul_i32 s47, s20, s31
	v_mov_b32_e32 v4, s30
	s_add_i32 s48, s47, s46
	v_mad_u64_u32 v[4:5], s[46:47], s20, v4, v[8:9]
	v_add_u32_e32 v5, s48, v5
	v_lshl_add_u64 v[6:7], v[4:5], 0, v[10:11]
	v_cmp_ge_u64_e32 vcc, v[6:7], v[4:5]
	s_mov_b64 s[48:49], -1
	s_and_b64 s[50:51], vcc, s[40:41]
	v_mov_b64_e32 v[4:5], v[0:1]
	v_mov_b64_e32 v[6:7], v[16:17]
	s_and_saveexec_b64 s[46:47], s[50:51]
	s_cbranch_execz .LBB34_30
; %bb.25:                               ;   in Loop: Header=BB34_8 Depth=1
	v_mov_b64_e32 v[6:7], v[2:3]
	v_mov_b32_e32 v25, v24
	v_mov_b32_e32 v27, v26
	s_mov_b64 s[48:49], 0
	v_mov_b64_e32 v[28:29], v[12:13]
	v_mov_b64_e32 v[30:31], v[22:23]
	;; [unrolled: 1-line block ×3, first 2 shown]
.LBB34_26:                              ;   Parent Loop BB34_8 Depth=1
                                        ; =>  This Inner Loop Header: Depth=2
	v_add_co_u32_e32 v44, vcc, s33, v30
	v_lshlrev_b32_e32 v19, 3, v4
	s_nop 0
	v_addc_co_u32_e32 v45, vcc, -1, v31, vcc
	flat_load_dwordx2 v[46:47], v[44:45]
	flat_load_dwordx2 v[48:49], v[30:31]
	v_lshlrev_b32_e32 v52, 3, v6
	ds_read_b64 v[50:51], v19
	ds_read_b64 v[52:53], v52
	v_lshl_add_u64 v[28:29], v[28:29], 0, -2
	v_cmp_eq_u64_e32 vcc, 0, v[28:29]
	v_lshl_add_u64 v[6:7], v[6:7], 0, s[34:35]
	s_waitcnt lgkmcnt(0)
	v_mov_b32_e32 v54, v50
	v_mov_b32_e32 v55, v52
	;; [unrolled: 1-line block ×3, first 2 shown]
	v_pk_mul_f32 v[50:51], v[26:27], v[52:53]
	v_pk_mul_f32 v[52:53], v[24:25], v[52:53]
	v_pk_fma_f32 v[50:51], v[24:25], v[54:55], v[50:51] neg_lo:[0,0,1] neg_hi:[0,0,1]
	v_pk_fma_f32 v[52:53], v[26:27], v[54:55], v[52:53]
	v_lshl_add_u64 v[4:5], v[4:5], 0, s[34:35]
	s_or_b64 s[48:49], vcc, s[48:49]
	s_waitcnt vmcnt(0)
	v_mov_b32_e32 v54, v46
	v_mov_b32_e32 v55, v48
	;; [unrolled: 1-line block ×3, first 2 shown]
	v_pk_add_f32 v[46:47], v[54:55], v[50:51]
	v_pk_add_f32 v[48:49], v[52:53], v[48:49]
	v_mov_b32_e32 v50, v46
	v_mov_b32_e32 v51, v48
	;; [unrolled: 1-line block ×3, first 2 shown]
	flat_store_dwordx2 v[44:45], v[50:51]
	flat_store_dwordx2 v[30:31], v[48:49]
	v_lshl_add_u64 v[30:31], v[30:31], 0, s[36:37]
	s_andn2_b64 exec, exec, s[48:49]
	s_cbranch_execnz .LBB34_26
; %bb.27:                               ;   in Loop: Header=BB34_8 Depth=1
	s_or_b64 exec, exec, s[48:49]
	s_mov_b64 s[48:49], 0
                                        ; implicit-def: $vgpr6_vgpr7
	s_and_saveexec_b64 s[50:51], s[10:11]
; %bb.28:                               ;   in Loop: Header=BB34_8 Depth=1
	s_mov_b64 s[48:49], exec
	v_lshlrev_b64 v[6:7], 3, v[14:15]
; %bb.29:                               ;   in Loop: Header=BB34_8 Depth=1
	s_or_b64 exec, exec, s[50:51]
	s_orn2_b64 s[48:49], s[48:49], exec
	v_mov_b64_e32 v[4:5], v[14:15]
.LBB34_30:                              ;   in Loop: Header=BB34_8 Depth=1
	s_or_b64 exec, exec, s[46:47]
	s_andn2_b64 s[46:47], s[22:23], exec
	s_and_b64 s[48:49], s[48:49], exec
	s_or_b64 s[46:47], s[46:47], s[48:49]
.LBB34_31:                              ;   in Loop: Header=BB34_8 Depth=1
	s_or_b64 exec, exec, s[44:45]
	s_and_b64 exec, exec, s[46:47]
	s_cbranch_execz .LBB34_7
; %bb.32:                               ;   in Loop: Header=BB34_8 Depth=1
	v_mov_b32_e32 v27, v26
	v_mov_b32_e32 v25, v24
	v_lshlrev_b32_e32 v19, 3, v4
	v_lshl_add_u64 v[6:7], s[24:25], 0, v[6:7]
	s_mov_b64 s[44:45], 0
.LBB34_33:                              ;   Parent Loop BB34_8 Depth=1
                                        ; =>  This Inner Loop Header: Depth=2
	flat_load_dwordx2 v[28:29], v[6:7]
	ds_read_b64 v[30:31], v19
	v_lshl_add_u64 v[4:5], v[4:5], 0, s[38:39]
	v_cmp_le_i64_e32 vcc, s[12:13], v[4:5]
	v_add_u32_e32 v19, 0x2000, v19
	s_or_b64 s[44:45], vcc, s[44:45]
	s_waitcnt lgkmcnt(0)
	v_pk_mul_f32 v[44:45], v[26:27], v[30:31] op_sel:[0,1] op_sel_hi:[1,0]
	s_nop 0
	v_pk_fma_f32 v[46:47], v[24:25], v[30:31], v[44:45] neg_lo:[0,0,1] neg_hi:[0,0,1]
	v_pk_fma_f32 v[30:31], v[24:25], v[30:31], v[44:45]
	s_nop 0
	v_mov_b32_e32 v47, v31
	s_waitcnt vmcnt(0)
	v_pk_add_f32 v[28:29], v[28:29], v[46:47]
	flat_store_dwordx2 v[6:7], v[28:29]
	v_lshl_add_u64 v[6:7], v[6:7], 0, s[26:27]
	s_andn2_b64 exec, exec, s[44:45]
	s_cbranch_execnz .LBB34_33
	s_branch .LBB34_7
.LBB34_34:
	s_endpgm
	.section	.rodata,"a",@progbits
	.p2align	6, 0x0
	.amdhsa_kernel _ZN9rocsolver6v33100L22larf_left_kernel_smallILi1024E19rocblas_complex_numIfElPKPS3_EEvT1_S7_T2_lS7_lPKT0_lS8_lS7_l
		.amdhsa_group_segment_fixed_size 24576
		.amdhsa_private_segment_fixed_size 0
		.amdhsa_kernarg_size 96
		.amdhsa_user_sgpr_count 2
		.amdhsa_user_sgpr_dispatch_ptr 0
		.amdhsa_user_sgpr_queue_ptr 0
		.amdhsa_user_sgpr_kernarg_segment_ptr 1
		.amdhsa_user_sgpr_dispatch_id 0
		.amdhsa_user_sgpr_kernarg_preload_length 0
		.amdhsa_user_sgpr_kernarg_preload_offset 0
		.amdhsa_user_sgpr_private_segment_size 0
		.amdhsa_uses_dynamic_stack 0
		.amdhsa_enable_private_segment 0
		.amdhsa_system_sgpr_workgroup_id_x 1
		.amdhsa_system_sgpr_workgroup_id_y 1
		.amdhsa_system_sgpr_workgroup_id_z 0
		.amdhsa_system_sgpr_workgroup_info 0
		.amdhsa_system_vgpr_workitem_id 0
		.amdhsa_next_free_vgpr 56
		.amdhsa_next_free_sgpr 52
		.amdhsa_accum_offset 56
		.amdhsa_reserve_vcc 1
		.amdhsa_float_round_mode_32 0
		.amdhsa_float_round_mode_16_64 0
		.amdhsa_float_denorm_mode_32 3
		.amdhsa_float_denorm_mode_16_64 3
		.amdhsa_dx10_clamp 1
		.amdhsa_ieee_mode 1
		.amdhsa_fp16_overflow 0
		.amdhsa_tg_split 0
		.amdhsa_exception_fp_ieee_invalid_op 0
		.amdhsa_exception_fp_denorm_src 0
		.amdhsa_exception_fp_ieee_div_zero 0
		.amdhsa_exception_fp_ieee_overflow 0
		.amdhsa_exception_fp_ieee_underflow 0
		.amdhsa_exception_fp_ieee_inexact 0
		.amdhsa_exception_int_div_zero 0
	.end_amdhsa_kernel
	.section	.text._ZN9rocsolver6v33100L22larf_left_kernel_smallILi1024E19rocblas_complex_numIfElPKPS3_EEvT1_S7_T2_lS7_lPKT0_lS8_lS7_l,"axG",@progbits,_ZN9rocsolver6v33100L22larf_left_kernel_smallILi1024E19rocblas_complex_numIfElPKPS3_EEvT1_S7_T2_lS7_lPKT0_lS8_lS7_l,comdat
.Lfunc_end34:
	.size	_ZN9rocsolver6v33100L22larf_left_kernel_smallILi1024E19rocblas_complex_numIfElPKPS3_EEvT1_S7_T2_lS7_lPKT0_lS8_lS7_l, .Lfunc_end34-_ZN9rocsolver6v33100L22larf_left_kernel_smallILi1024E19rocblas_complex_numIfElPKPS3_EEvT1_S7_T2_lS7_lPKT0_lS8_lS7_l
                                        ; -- End function
	.set _ZN9rocsolver6v33100L22larf_left_kernel_smallILi1024E19rocblas_complex_numIfElPKPS3_EEvT1_S7_T2_lS7_lPKT0_lS8_lS7_l.num_vgpr, 56
	.set _ZN9rocsolver6v33100L22larf_left_kernel_smallILi1024E19rocblas_complex_numIfElPKPS3_EEvT1_S7_T2_lS7_lPKT0_lS8_lS7_l.num_agpr, 0
	.set _ZN9rocsolver6v33100L22larf_left_kernel_smallILi1024E19rocblas_complex_numIfElPKPS3_EEvT1_S7_T2_lS7_lPKT0_lS8_lS7_l.numbered_sgpr, 52
	.set _ZN9rocsolver6v33100L22larf_left_kernel_smallILi1024E19rocblas_complex_numIfElPKPS3_EEvT1_S7_T2_lS7_lPKT0_lS8_lS7_l.num_named_barrier, 0
	.set _ZN9rocsolver6v33100L22larf_left_kernel_smallILi1024E19rocblas_complex_numIfElPKPS3_EEvT1_S7_T2_lS7_lPKT0_lS8_lS7_l.private_seg_size, 0
	.set _ZN9rocsolver6v33100L22larf_left_kernel_smallILi1024E19rocblas_complex_numIfElPKPS3_EEvT1_S7_T2_lS7_lPKT0_lS8_lS7_l.uses_vcc, 1
	.set _ZN9rocsolver6v33100L22larf_left_kernel_smallILi1024E19rocblas_complex_numIfElPKPS3_EEvT1_S7_T2_lS7_lPKT0_lS8_lS7_l.uses_flat_scratch, 0
	.set _ZN9rocsolver6v33100L22larf_left_kernel_smallILi1024E19rocblas_complex_numIfElPKPS3_EEvT1_S7_T2_lS7_lPKT0_lS8_lS7_l.has_dyn_sized_stack, 0
	.set _ZN9rocsolver6v33100L22larf_left_kernel_smallILi1024E19rocblas_complex_numIfElPKPS3_EEvT1_S7_T2_lS7_lPKT0_lS8_lS7_l.has_recursion, 0
	.set _ZN9rocsolver6v33100L22larf_left_kernel_smallILi1024E19rocblas_complex_numIfElPKPS3_EEvT1_S7_T2_lS7_lPKT0_lS8_lS7_l.has_indirect_call, 0
	.section	.AMDGPU.csdata,"",@progbits
; Kernel info:
; codeLenInByte = 2204
; TotalNumSgprs: 58
; NumVgprs: 56
; NumAgprs: 0
; TotalNumVgprs: 56
; ScratchSize: 0
; MemoryBound: 0
; FloatMode: 240
; IeeeMode: 1
; LDSByteSize: 24576 bytes/workgroup (compile time only)
; SGPRBlocks: 7
; VGPRBlocks: 6
; NumSGPRsForWavesPerEU: 58
; NumVGPRsForWavesPerEU: 56
; AccumOffset: 56
; Occupancy: 8
; WaveLimiterHint : 1
; COMPUTE_PGM_RSRC2:SCRATCH_EN: 0
; COMPUTE_PGM_RSRC2:USER_SGPR: 2
; COMPUTE_PGM_RSRC2:TRAP_HANDLER: 0
; COMPUTE_PGM_RSRC2:TGID_X_EN: 1
; COMPUTE_PGM_RSRC2:TGID_Y_EN: 1
; COMPUTE_PGM_RSRC2:TGID_Z_EN: 0
; COMPUTE_PGM_RSRC2:TIDIG_COMP_CNT: 0
; COMPUTE_PGM_RSRC3_GFX90A:ACCUM_OFFSET: 13
; COMPUTE_PGM_RSRC3_GFX90A:TG_SPLIT: 0
	.section	.text._ZN9rocsolver6v33100L23larf_right_kernel_smallILi64E19rocblas_complex_numIfElPKPS3_EEvT1_S7_T2_lS7_lPKT0_lS8_lS7_l,"axG",@progbits,_ZN9rocsolver6v33100L23larf_right_kernel_smallILi64E19rocblas_complex_numIfElPKPS3_EEvT1_S7_T2_lS7_lPKT0_lS8_lS7_l,comdat
	.globl	_ZN9rocsolver6v33100L23larf_right_kernel_smallILi64E19rocblas_complex_numIfElPKPS3_EEvT1_S7_T2_lS7_lPKT0_lS8_lS7_l ; -- Begin function _ZN9rocsolver6v33100L23larf_right_kernel_smallILi64E19rocblas_complex_numIfElPKPS3_EEvT1_S7_T2_lS7_lPKT0_lS8_lS7_l
	.p2align	8
	.type	_ZN9rocsolver6v33100L23larf_right_kernel_smallILi64E19rocblas_complex_numIfElPKPS3_EEvT1_S7_T2_lS7_lPKT0_lS8_lS7_l,@function
_ZN9rocsolver6v33100L23larf_right_kernel_smallILi64E19rocblas_complex_numIfElPKPS3_EEvT1_S7_T2_lS7_lPKT0_lS8_lS7_l: ; @_ZN9rocsolver6v33100L23larf_right_kernel_smallILi64E19rocblas_complex_numIfElPKPS3_EEvT1_S7_T2_lS7_lPKT0_lS8_lS7_l
; %bb.0:
	s_mov_b32 s20, s3
	s_load_dwordx8 s[4:11], s[0:1], 0x0
	s_load_dwordx2 s[24:25], s[0:1], 0x20
	s_load_dwordx8 s[12:19], s[0:1], 0x30
	s_load_dwordx2 s[22:23], s[0:1], 0x50
	s_mov_b32 s3, 0
	s_lshl_b64 s[0:1], s[2:3], 3
	s_waitcnt lgkmcnt(0)
	s_add_u32 s26, s8, s0
	s_addc_u32 s27, s9, s1
	s_add_u32 s0, s16, s0
	v_cmp_gt_i64_e64 s[8:9], s[24:25], 0
	s_addc_u32 s1, s17, s1
	s_mov_b64 s[28:29], 0
	s_and_b64 vcc, exec, s[8:9]
	s_cbranch_vccnz .LBB35_2
; %bb.1:
	s_sub_u32 s3, 1, s6
	s_subb_u32 s8, 0, s7
	s_mul_i32 s8, s24, s8
	s_mul_hi_u32 s9, s24, s3
	s_add_i32 s8, s9, s8
	s_mul_i32 s9, s25, s3
	s_add_i32 s29, s8, s9
	s_mul_i32 s28, s24, s3
.LBB35_2:
	s_load_dwordx2 s[16:17], s[0:1], 0x0
	v_mov_b32_e32 v1, 0
	v_cmp_gt_i64_e64 s[0:1], s[6:7], v[0:1]
	v_lshlrev_b32_e32 v16, 3, v0
	s_and_saveexec_b64 s[8:9], s[0:1]
	s_cbranch_execz .LBB35_5
; %bb.3:
	s_load_dwordx2 s[26:27], s[26:27], 0x0
	s_lshl_b64 s[28:29], s[28:29], 3
	s_lshl_b64 s[10:11], s[10:11], 3
	v_mad_u64_u32 v[2:3], s[30:31], s24, v0, 0
	s_waitcnt lgkmcnt(0)
	s_add_u32 s3, s26, s10
	v_mov_b32_e32 v4, v3
	s_addc_u32 s11, s27, s11
	v_mad_u64_u32 v[4:5], s[30:31], s25, v0, v[4:5]
	s_add_u32 s10, s3, s28
	v_mov_b32_e32 v3, v4
	s_addc_u32 s11, s11, s29
	v_lshl_add_u64 v[2:3], v[2:3], 3, s[10:11]
	s_lshl_b64 s[10:11], s[24:25], 9
	v_lshlrev_b32_e32 v6, 3, v0
	s_mov_b64 s[24:25], 0
	v_mov_b64_e32 v[4:5], v[0:1]
.LBB35_4:                               ; =>This Inner Loop Header: Depth=1
	flat_load_dwordx2 v[8:9], v[2:3]
	v_lshl_add_u64 v[4:5], v[4:5], 0, 64
	v_cmp_le_i64_e32 vcc, s[6:7], v[4:5]
	v_lshl_add_u64 v[2:3], v[2:3], 0, s[10:11]
	s_or_b64 s[24:25], vcc, s[24:25]
	s_waitcnt vmcnt(0) lgkmcnt(0)
	ds_write_b64 v6, v[8:9]
	v_add_u32_e32 v6, 0x200, v6
	s_andn2_b64 exec, exec, s[24:25]
	s_cbranch_execnz .LBB35_4
.LBB35_5:
	s_or_b64 exec, exec, s[8:9]
	s_mov_b32 s21, 0
	v_mov_b64_e32 v[2:3], s[20:21]
	v_cmp_le_i64_e32 vcc, s[4:5], v[2:3]
	s_waitcnt lgkmcnt(0)
	; wave barrier
	s_cbranch_vccnz .LBB35_23
; %bb.6:
	s_lshl_b64 s[18:19], s[18:19], 3
	s_add_u32 s24, s16, s18
	s_mul_i32 s3, s15, s2
	s_mul_hi_u32 s8, s14, s2
	s_addc_u32 s25, s17, s19
	s_add_i32 s3, s8, s3
	s_mul_i32 s2, s14, s2
	s_lshl_b64 s[2:3], s[2:3], 3
	s_add_u32 s8, s12, s2
	v_mad_u64_u32 v[2:3], s[14:15], s22, v0, 0
	s_addc_u32 s9, s13, s3
	v_mov_b32_e32 v4, v3
	s_cmp_gt_i32 s6, 1
	v_mad_u64_u32 v[4:5], s[14:15], s23, v0, v[4:5]
	s_cselect_b64 s[10:11], -1, 0
	s_lshl_b32 s26, s22, 6
	s_lshl_b64 s[14:15], s[20:21], 3
	s_add_u32 s14, s16, s14
	s_addc_u32 s15, s17, s15
	s_add_u32 s14, s14, s18
	v_mbcnt_lo_u32_b32 v5, -1, 0
	v_lshrrev_b32_e32 v6, 3, v0
	v_mov_b32_e32 v3, v4
	s_addc_u32 s15, s15, s19
	v_mbcnt_hi_u32_b32 v18, -1, v5
	v_mov_b32_e32 v5, 0x80
	v_cmp_gt_i32_e64 s[2:3], s6, v0
	v_cmp_eq_u32_e64 s[12:13], 0, v0
	v_mul_lo_u32 v17, v0, s22
	v_lshl_add_u64 v[2:3], v[2:3], 3, s[14:15]
	s_lshl_b64 s[14:15], s[22:23], 9
	v_mov_b32_e32 v4, 0
	v_and_b32_e32 v19, 63, v18
	v_or_b32_e32 v20, 0x4000, v6
	s_mov_b64 s[16:17], 0x200
	v_mov_b64_e32 v[6:7], s[4:5]
	v_lshl_or_b32 v21, v18, 2, v5
	s_branch .LBB35_8
.LBB35_7:                               ;   in Loop: Header=BB35_8 Depth=1
	s_or_b64 exec, exec, s[4:5]
	s_add_u32 s20, s20, 64
	s_addc_u32 s21, s21, 0
	v_cmp_ge_i64_e32 vcc, s[20:21], v[6:7]
	v_lshl_add_u64 v[2:3], v[2:3], 0, s[16:17]
	s_cbranch_vccnz .LBB35_23
.LBB35_8:                               ; =>This Loop Header: Depth=1
                                        ;     Child Loop BB35_10 Depth 2
                                        ;     Child Loop BB35_22 Depth 2
	v_mov_b32_e32 v5, v4
	v_mov_b64_e32 v[8:9], v[4:5]
	s_and_saveexec_b64 s[4:5], s[2:3]
	s_cbranch_execz .LBB35_12
; %bb.9:                                ;   in Loop: Header=BB35_8 Depth=1
	s_lshl_b64 s[18:19], s[20:21], 3
	s_add_u32 s18, s24, s18
	v_mov_b32_e32 v8, 0
	s_addc_u32 s19, s25, s19
	s_mov_b64 s[22:23], 0
	v_mov_b32_e32 v10, v17
	v_mov_b32_e32 v5, v16
	;; [unrolled: 1-line block ×4, first 2 shown]
.LBB35_10:                              ;   Parent Loop BB35_8 Depth=1
                                        ; =>  This Inner Loop Header: Depth=2
	v_ashrrev_i32_e32 v11, 31, v10
	v_lshl_add_u64 v[14:15], v[10:11], 3, s[18:19]
	flat_load_dwordx2 v[14:15], v[14:15]
	ds_read_b64 v[22:23], v5
	v_add_u32_e32 v12, 64, v12
	v_cmp_le_i32_e32 vcc, s6, v12
	v_add_u32_e32 v5, 0x200, v5
	v_add_u32_e32 v10, s26, v10
	s_or_b64 s[22:23], vcc, s[22:23]
	s_waitcnt vmcnt(0) lgkmcnt(0)
	v_pk_mul_f32 v[24:25], v[14:15], v[22:23] op_sel:[1,1] op_sel_hi:[0,1]
	v_pk_fma_f32 v[26:27], v[14:15], v[22:23], v[24:25] neg_lo:[0,0,1] neg_hi:[0,0,1]
	v_pk_fma_f32 v[14:15], v[14:15], v[22:23], v[24:25] op_sel_hi:[1,0,1]
	s_nop 0
	v_mov_b32_e32 v27, v15
	v_pk_add_f32 v[8:9], v[8:9], v[26:27]
	s_andn2_b64 exec, exec, s[22:23]
	s_cbranch_execnz .LBB35_10
; %bb.11:                               ;   in Loop: Header=BB35_8 Depth=1
	s_or_b64 exec, exec, s[22:23]
.LBB35_12:                              ;   in Loop: Header=BB35_8 Depth=1
	s_or_b64 exec, exec, s[4:5]
	s_and_b64 vcc, exec, s[10:11]
	s_cbranch_vccz .LBB35_17
; %bb.13:                               ;   in Loop: Header=BB35_8 Depth=1
	v_cmp_ne_u32_e32 vcc, 63, v19
	s_nop 1
	v_addc_co_u32_e32 v5, vcc, 0, v18, vcc
	v_lshlrev_b32_e32 v5, 2, v5
	ds_bpermute_b32 v10, v5, v8
	ds_bpermute_b32 v11, v5, v9
	v_cmp_gt_u32_e32 vcc, 62, v19
	s_waitcnt lgkmcnt(0)
	v_pk_add_f32 v[10:11], v[8:9], v[10:11]
	v_cndmask_b32_e64 v5, 0, 2, vcc
	v_add_lshl_u32 v5, v5, v18, 2
	ds_bpermute_b32 v12, v5, v10
	ds_bpermute_b32 v13, v5, v11
	v_cmp_gt_u32_e32 vcc, 60, v19
	s_waitcnt lgkmcnt(0)
	v_pk_add_f32 v[10:11], v[10:11], v[12:13]
	v_cndmask_b32_e64 v5, 0, 4, vcc
	v_add_lshl_u32 v5, v5, v18, 2
	;; [unrolled: 7-line block ×4, first 2 shown]
	ds_bpermute_b32 v12, v5, v10
	ds_bpermute_b32 v13, v5, v11
	s_waitcnt lgkmcnt(0)
	v_pk_add_f32 v[10:11], v[10:11], v[12:13]
	ds_bpermute_b32 v12, v21, v10
	ds_bpermute_b32 v13, v21, v11
	s_waitcnt lgkmcnt(0)
	v_pk_add_f32 v[10:11], v[10:11], v[12:13]
	s_and_saveexec_b64 s[4:5], s[12:13]
; %bb.14:                               ;   in Loop: Header=BB35_8 Depth=1
	ds_write2_b32 v20, v10, v11 offset1:1
; %bb.15:                               ;   in Loop: Header=BB35_8 Depth=1
	s_or_b64 exec, exec, s[4:5]
	s_waitcnt lgkmcnt(0)
	; wave barrier
	s_mov_b64 s[4:5], s[12:13]
.LBB35_16:                              ;   in Loop: Header=BB35_8 Depth=1
	v_mov_b64_e32 v[8:9], v[10:11]
	s_and_saveexec_b64 s[18:19], s[4:5]
	s_cbranch_execnz .LBB35_19
	s_branch .LBB35_20
.LBB35_17:                              ;   in Loop: Header=BB35_8 Depth=1
	s_mov_b64 s[4:5], 0
                                        ; implicit-def: $vgpr10_vgpr11
	s_cbranch_execz .LBB35_16
; %bb.18:                               ;   in Loop: Header=BB35_8 Depth=1
	s_andn2_b64 s[4:5], s[4:5], exec
	s_and_b64 s[18:19], s[12:13], exec
	s_or_b64 s[4:5], s[4:5], s[18:19]
	s_and_saveexec_b64 s[18:19], s[4:5]
.LBB35_19:                              ;   in Loop: Header=BB35_8 Depth=1
	ds_write_b64 v4, v[8:9] offset:16384
.LBB35_20:                              ;   in Loop: Header=BB35_8 Depth=1
	s_or_b64 exec, exec, s[18:19]
	s_waitcnt lgkmcnt(0)
	; wave barrier
	s_and_saveexec_b64 s[4:5], s[0:1]
	s_cbranch_execz .LBB35_7
; %bb.21:                               ;   in Loop: Header=BB35_8 Depth=1
	global_load_dwordx2 v[10:11], v4, s[8:9]
	ds_read_b64 v[12:13], v4 offset:16384
	s_mov_b64 s[18:19], 0
	v_mov_b32_e32 v5, v16
	v_mov_b64_e32 v[8:9], v[2:3]
	s_waitcnt vmcnt(0) lgkmcnt(0)
	v_mul_f32_e32 v14, v10, v12
	v_mul_f32_e32 v15, v10, v13
	v_fma_f32 v10, v11, v13, -v14
	v_fma_f32 v12, v12, -v11, -v15
	v_mov_b32_e32 v13, v12
	v_mov_b32_e32 v11, v10
	v_mov_b64_e32 v[14:15], v[0:1]
.LBB35_22:                              ;   Parent Loop BB35_8 Depth=1
                                        ; =>  This Inner Loop Header: Depth=2
	flat_load_dwordx2 v[22:23], v[8:9]
	ds_read_b64 v[24:25], v5
	v_lshl_add_u64 v[14:15], v[14:15], 0, 64
	v_cmp_le_i64_e32 vcc, s[6:7], v[14:15]
	s_or_b64 s[18:19], vcc, s[18:19]
	v_add_u32_e32 v5, 0x200, v5
	s_waitcnt lgkmcnt(0)
	v_pk_mul_f32 v[26:27], v[10:11], v[24:25]
	s_nop 0
	v_pk_fma_f32 v[28:29], v[12:13], v[24:25], v[26:27] op_sel:[0,1,0] op_sel_hi:[1,0,1]
	v_pk_fma_f32 v[24:25], v[12:13], v[24:25], v[26:27] op_sel:[0,1,0] op_sel_hi:[1,0,1] neg_lo:[0,0,1] neg_hi:[0,0,1]
	s_nop 0
	v_mov_b32_e32 v29, v25
	s_waitcnt vmcnt(0)
	v_pk_add_f32 v[22:23], v[22:23], v[28:29]
	flat_store_dwordx2 v[8:9], v[22:23]
	v_lshl_add_u64 v[8:9], v[8:9], 0, s[14:15]
	s_andn2_b64 exec, exec, s[18:19]
	s_cbranch_execnz .LBB35_22
	s_branch .LBB35_7
.LBB35_23:
	s_endpgm
	.section	.rodata,"a",@progbits
	.p2align	6, 0x0
	.amdhsa_kernel _ZN9rocsolver6v33100L23larf_right_kernel_smallILi64E19rocblas_complex_numIfElPKPS3_EEvT1_S7_T2_lS7_lPKT0_lS8_lS7_l
		.amdhsa_group_segment_fixed_size 16392
		.amdhsa_private_segment_fixed_size 0
		.amdhsa_kernarg_size 96
		.amdhsa_user_sgpr_count 2
		.amdhsa_user_sgpr_dispatch_ptr 0
		.amdhsa_user_sgpr_queue_ptr 0
		.amdhsa_user_sgpr_kernarg_segment_ptr 1
		.amdhsa_user_sgpr_dispatch_id 0
		.amdhsa_user_sgpr_kernarg_preload_length 0
		.amdhsa_user_sgpr_kernarg_preload_offset 0
		.amdhsa_user_sgpr_private_segment_size 0
		.amdhsa_uses_dynamic_stack 0
		.amdhsa_enable_private_segment 0
		.amdhsa_system_sgpr_workgroup_id_x 1
		.amdhsa_system_sgpr_workgroup_id_y 1
		.amdhsa_system_sgpr_workgroup_id_z 0
		.amdhsa_system_sgpr_workgroup_info 0
		.amdhsa_system_vgpr_workitem_id 0
		.amdhsa_next_free_vgpr 129
		.amdhsa_next_free_sgpr 96
		.amdhsa_accum_offset 32
		.amdhsa_reserve_vcc 1
		.amdhsa_float_round_mode_32 0
		.amdhsa_float_round_mode_16_64 0
		.amdhsa_float_denorm_mode_32 3
		.amdhsa_float_denorm_mode_16_64 3
		.amdhsa_dx10_clamp 1
		.amdhsa_ieee_mode 1
		.amdhsa_fp16_overflow 0
		.amdhsa_tg_split 0
		.amdhsa_exception_fp_ieee_invalid_op 0
		.amdhsa_exception_fp_denorm_src 0
		.amdhsa_exception_fp_ieee_div_zero 0
		.amdhsa_exception_fp_ieee_overflow 0
		.amdhsa_exception_fp_ieee_underflow 0
		.amdhsa_exception_fp_ieee_inexact 0
		.amdhsa_exception_int_div_zero 0
	.end_amdhsa_kernel
	.section	.text._ZN9rocsolver6v33100L23larf_right_kernel_smallILi64E19rocblas_complex_numIfElPKPS3_EEvT1_S7_T2_lS7_lPKT0_lS8_lS7_l,"axG",@progbits,_ZN9rocsolver6v33100L23larf_right_kernel_smallILi64E19rocblas_complex_numIfElPKPS3_EEvT1_S7_T2_lS7_lPKT0_lS8_lS7_l,comdat
.Lfunc_end35:
	.size	_ZN9rocsolver6v33100L23larf_right_kernel_smallILi64E19rocblas_complex_numIfElPKPS3_EEvT1_S7_T2_lS7_lPKT0_lS8_lS7_l, .Lfunc_end35-_ZN9rocsolver6v33100L23larf_right_kernel_smallILi64E19rocblas_complex_numIfElPKPS3_EEvT1_S7_T2_lS7_lPKT0_lS8_lS7_l
                                        ; -- End function
	.set _ZN9rocsolver6v33100L23larf_right_kernel_smallILi64E19rocblas_complex_numIfElPKPS3_EEvT1_S7_T2_lS7_lPKT0_lS8_lS7_l.num_vgpr, 30
	.set _ZN9rocsolver6v33100L23larf_right_kernel_smallILi64E19rocblas_complex_numIfElPKPS3_EEvT1_S7_T2_lS7_lPKT0_lS8_lS7_l.num_agpr, 0
	.set _ZN9rocsolver6v33100L23larf_right_kernel_smallILi64E19rocblas_complex_numIfElPKPS3_EEvT1_S7_T2_lS7_lPKT0_lS8_lS7_l.numbered_sgpr, 32
	.set _ZN9rocsolver6v33100L23larf_right_kernel_smallILi64E19rocblas_complex_numIfElPKPS3_EEvT1_S7_T2_lS7_lPKT0_lS8_lS7_l.num_named_barrier, 0
	.set _ZN9rocsolver6v33100L23larf_right_kernel_smallILi64E19rocblas_complex_numIfElPKPS3_EEvT1_S7_T2_lS7_lPKT0_lS8_lS7_l.private_seg_size, 0
	.set _ZN9rocsolver6v33100L23larf_right_kernel_smallILi64E19rocblas_complex_numIfElPKPS3_EEvT1_S7_T2_lS7_lPKT0_lS8_lS7_l.uses_vcc, 1
	.set _ZN9rocsolver6v33100L23larf_right_kernel_smallILi64E19rocblas_complex_numIfElPKPS3_EEvT1_S7_T2_lS7_lPKT0_lS8_lS7_l.uses_flat_scratch, 0
	.set _ZN9rocsolver6v33100L23larf_right_kernel_smallILi64E19rocblas_complex_numIfElPKPS3_EEvT1_S7_T2_lS7_lPKT0_lS8_lS7_l.has_dyn_sized_stack, 0
	.set _ZN9rocsolver6v33100L23larf_right_kernel_smallILi64E19rocblas_complex_numIfElPKPS3_EEvT1_S7_T2_lS7_lPKT0_lS8_lS7_l.has_recursion, 0
	.set _ZN9rocsolver6v33100L23larf_right_kernel_smallILi64E19rocblas_complex_numIfElPKPS3_EEvT1_S7_T2_lS7_lPKT0_lS8_lS7_l.has_indirect_call, 0
	.section	.AMDGPU.csdata,"",@progbits
; Kernel info:
; codeLenInByte = 1260
; TotalNumSgprs: 38
; NumVgprs: 30
; NumAgprs: 0
; TotalNumVgprs: 30
; ScratchSize: 0
; MemoryBound: 0
; FloatMode: 240
; IeeeMode: 1
; LDSByteSize: 16392 bytes/workgroup (compile time only)
; SGPRBlocks: 12
; VGPRBlocks: 16
; NumSGPRsForWavesPerEU: 102
; NumVGPRsForWavesPerEU: 129
; AccumOffset: 32
; Occupancy: 3
; WaveLimiterHint : 1
; COMPUTE_PGM_RSRC2:SCRATCH_EN: 0
; COMPUTE_PGM_RSRC2:USER_SGPR: 2
; COMPUTE_PGM_RSRC2:TRAP_HANDLER: 0
; COMPUTE_PGM_RSRC2:TGID_X_EN: 1
; COMPUTE_PGM_RSRC2:TGID_Y_EN: 1
; COMPUTE_PGM_RSRC2:TGID_Z_EN: 0
; COMPUTE_PGM_RSRC2:TIDIG_COMP_CNT: 0
; COMPUTE_PGM_RSRC3_GFX90A:ACCUM_OFFSET: 7
; COMPUTE_PGM_RSRC3_GFX90A:TG_SPLIT: 0
	.section	.text._ZN9rocsolver6v33100L23larf_right_kernel_smallILi128E19rocblas_complex_numIfElPKPS3_EEvT1_S7_T2_lS7_lPKT0_lS8_lS7_l,"axG",@progbits,_ZN9rocsolver6v33100L23larf_right_kernel_smallILi128E19rocblas_complex_numIfElPKPS3_EEvT1_S7_T2_lS7_lPKT0_lS8_lS7_l,comdat
	.globl	_ZN9rocsolver6v33100L23larf_right_kernel_smallILi128E19rocblas_complex_numIfElPKPS3_EEvT1_S7_T2_lS7_lPKT0_lS8_lS7_l ; -- Begin function _ZN9rocsolver6v33100L23larf_right_kernel_smallILi128E19rocblas_complex_numIfElPKPS3_EEvT1_S7_T2_lS7_lPKT0_lS8_lS7_l
	.p2align	8
	.type	_ZN9rocsolver6v33100L23larf_right_kernel_smallILi128E19rocblas_complex_numIfElPKPS3_EEvT1_S7_T2_lS7_lPKT0_lS8_lS7_l,@function
_ZN9rocsolver6v33100L23larf_right_kernel_smallILi128E19rocblas_complex_numIfElPKPS3_EEvT1_S7_T2_lS7_lPKT0_lS8_lS7_l: ; @_ZN9rocsolver6v33100L23larf_right_kernel_smallILi128E19rocblas_complex_numIfElPKPS3_EEvT1_S7_T2_lS7_lPKT0_lS8_lS7_l
; %bb.0:
	s_mov_b32 s24, s3
	s_load_dwordx8 s[8:15], s[0:1], 0x0
	s_load_dwordx2 s[4:5], s[0:1], 0x20
	s_load_dwordx8 s[16:23], s[0:1], 0x30
	s_load_dwordx2 s[26:27], s[0:1], 0x50
	s_mov_b32 s3, 0
	s_lshl_b64 s[0:1], s[2:3], 3
	s_waitcnt lgkmcnt(0)
	s_add_u32 s12, s12, s0
	s_addc_u32 s13, s13, s1
	s_add_u32 s0, s20, s0
	v_cmp_gt_i64_e64 s[6:7], s[4:5], 0
	s_addc_u32 s1, s21, s1
	s_mov_b64 s[28:29], 0
	s_and_b64 vcc, exec, s[6:7]
	s_cbranch_vccnz .LBB36_2
; %bb.1:
	s_sub_u32 s3, 1, s10
	s_subb_u32 s6, 0, s11
	s_mul_i32 s6, s4, s6
	s_mul_hi_u32 s7, s4, s3
	s_add_i32 s6, s7, s6
	s_mul_i32 s7, s5, s3
	s_add_i32 s29, s6, s7
	s_mul_i32 s28, s4, s3
.LBB36_2:
	s_load_dwordx2 s[20:21], s[0:1], 0x0
	v_mov_b32_e32 v1, 0
	v_cmp_gt_i64_e64 s[0:1], s[10:11], v[0:1]
	v_lshlrev_b32_e32 v16, 3, v0
	s_and_saveexec_b64 s[6:7], s[0:1]
	s_cbranch_execz .LBB36_5
; %bb.3:
	s_load_dwordx2 s[12:13], s[12:13], 0x0
	s_lshl_b64 s[28:29], s[28:29], 3
	s_lshl_b64 s[14:15], s[14:15], 3
	v_mad_u64_u32 v[2:3], s[30:31], s4, v0, 0
	s_waitcnt lgkmcnt(0)
	s_add_u32 s3, s12, s14
	v_mov_b32_e32 v4, v3
	s_addc_u32 s13, s13, s15
	v_mad_u64_u32 v[4:5], s[30:31], s5, v0, v[4:5]
	s_add_u32 s12, s3, s28
	v_mov_b32_e32 v3, v4
	s_addc_u32 s13, s13, s29
	v_lshl_add_u64 v[2:3], v[2:3], 3, s[12:13]
	s_lshl_b64 s[4:5], s[4:5], 10
	v_lshlrev_b32_e32 v6, 3, v0
	s_mov_b64 s[12:13], 0
	s_mov_b64 s[14:15], 0x80
	v_mov_b64_e32 v[4:5], v[0:1]
.LBB36_4:                               ; =>This Inner Loop Header: Depth=1
	flat_load_dwordx2 v[8:9], v[2:3]
	v_lshl_add_u64 v[4:5], v[4:5], 0, s[14:15]
	v_cmp_le_i64_e32 vcc, s[10:11], v[4:5]
	v_lshl_add_u64 v[2:3], v[2:3], 0, s[4:5]
	s_or_b64 s[12:13], vcc, s[12:13]
	s_waitcnt vmcnt(0) lgkmcnt(0)
	ds_write_b64 v6, v[8:9]
	v_add_u32_e32 v6, 0x400, v6
	s_andn2_b64 exec, exec, s[12:13]
	s_cbranch_execnz .LBB36_4
.LBB36_5:
	s_or_b64 exec, exec, s[6:7]
	s_mov_b32 s25, 0
	v_mov_b64_e32 v[2:3], s[24:25]
	v_cmp_le_i64_e32 vcc, s[8:9], v[2:3]
	s_waitcnt lgkmcnt(0)
	s_barrier
	s_cbranch_vccnz .LBB36_25
; %bb.6:
	s_lshl_b64 s[22:23], s[22:23], 3
	s_add_u32 s28, s20, s22
	s_mul_i32 s3, s19, s2
	s_mul_hi_u32 s4, s18, s2
	s_addc_u32 s29, s21, s23
	s_add_i32 s3, s4, s3
	s_mul_i32 s2, s18, s2
	s_lshl_b64 s[2:3], s[2:3], 3
	s_add_u32 s12, s16, s2
	v_and_b32_e32 v2, 63, v0
	s_addc_u32 s13, s17, s3
	v_cmp_eq_u32_e64 s[4:5], 0, v2
	v_mad_u64_u32 v[2:3], s[16:17], s26, v0, 0
	v_mov_b32_e32 v4, v3
	s_cmp_gt_i32 s10, 1
	v_mad_u64_u32 v[4:5], s[16:17], s27, v0, v[4:5]
	s_cselect_b64 s[14:15], -1, 0
	s_lshl_b32 s30, s26, 7
	s_lshl_b64 s[16:17], s[24:25], 3
	s_add_u32 s16, s20, s16
	s_addc_u32 s17, s21, s17
	s_add_u32 s16, s16, s22
	v_mbcnt_lo_u32_b32 v5, -1, 0
	v_lshrrev_b32_e32 v6, 3, v0
	v_mov_b32_e32 v3, v4
	s_addc_u32 s17, s17, s23
	v_mbcnt_hi_u32_b32 v18, -1, v5
	v_mov_b32_e32 v5, 0x80
	v_cmp_gt_i32_e64 s[2:3], s10, v0
	v_cmp_eq_u32_e64 s[6:7], 0, v0
	v_mul_lo_u32 v17, v0, s26
	v_lshl_add_u64 v[2:3], v[2:3], 3, s[16:17]
	s_lshl_b64 s[16:17], s[26:27], 10
	v_mov_b32_e32 v4, 0
	v_and_b32_e32 v19, 63, v18
	v_or_b32_e32 v20, 0x4000, v6
	s_mov_b64 s[18:19], 0x80
	s_mov_b64 s[20:21], 0x200
	v_mov_b64_e32 v[6:7], s[8:9]
	v_lshl_or_b32 v21, v18, 2, v5
	s_branch .LBB36_8
.LBB36_7:                               ;   in Loop: Header=BB36_8 Depth=1
	s_or_b64 exec, exec, s[8:9]
	s_add_u32 s24, s24, 64
	s_addc_u32 s25, s25, 0
	v_cmp_ge_i64_e32 vcc, s[24:25], v[6:7]
	v_lshl_add_u64 v[2:3], v[2:3], 0, s[20:21]
	s_cbranch_vccnz .LBB36_25
.LBB36_8:                               ; =>This Loop Header: Depth=1
                                        ;     Child Loop BB36_10 Depth 2
                                        ;     Child Loop BB36_24 Depth 2
	v_mov_b32_e32 v5, v4
	v_mov_b64_e32 v[8:9], v[4:5]
	s_and_saveexec_b64 s[8:9], s[2:3]
	s_cbranch_execz .LBB36_12
; %bb.9:                                ;   in Loop: Header=BB36_8 Depth=1
	s_lshl_b64 s[22:23], s[24:25], 3
	s_add_u32 s22, s28, s22
	v_mov_b32_e32 v8, 0
	s_addc_u32 s23, s29, s23
	s_mov_b64 s[26:27], 0
	v_mov_b32_e32 v10, v17
	v_mov_b32_e32 v5, v16
	;; [unrolled: 1-line block ×4, first 2 shown]
.LBB36_10:                              ;   Parent Loop BB36_8 Depth=1
                                        ; =>  This Inner Loop Header: Depth=2
	v_ashrrev_i32_e32 v11, 31, v10
	v_lshl_add_u64 v[14:15], v[10:11], 3, s[22:23]
	flat_load_dwordx2 v[14:15], v[14:15]
	ds_read_b64 v[22:23], v5
	v_add_u32_e32 v12, 0x80, v12
	v_cmp_le_i32_e32 vcc, s10, v12
	v_add_u32_e32 v5, 0x400, v5
	v_add_u32_e32 v10, s30, v10
	s_or_b64 s[26:27], vcc, s[26:27]
	s_waitcnt vmcnt(0) lgkmcnt(0)
	v_mul_f32_e32 v11, v15, v23
	v_mul_f32_e32 v25, v14, v23
	v_fma_f32 v24, v14, v22, -v11
	v_fmac_f32_e32 v25, v15, v22
	v_pk_add_f32 v[8:9], v[8:9], v[24:25]
	s_andn2_b64 exec, exec, s[26:27]
	s_cbranch_execnz .LBB36_10
; %bb.11:                               ;   in Loop: Header=BB36_8 Depth=1
	s_or_b64 exec, exec, s[26:27]
.LBB36_12:                              ;   in Loop: Header=BB36_8 Depth=1
	s_or_b64 exec, exec, s[8:9]
	s_and_b64 vcc, exec, s[14:15]
	s_cbranch_vccz .LBB36_19
; %bb.13:                               ;   in Loop: Header=BB36_8 Depth=1
	v_cmp_ne_u32_e32 vcc, 63, v19
	s_nop 1
	v_addc_co_u32_e32 v5, vcc, 0, v18, vcc
	v_lshlrev_b32_e32 v5, 2, v5
	ds_bpermute_b32 v10, v5, v8
	ds_bpermute_b32 v11, v5, v9
	v_cmp_gt_u32_e32 vcc, 62, v19
	s_waitcnt lgkmcnt(0)
	v_pk_add_f32 v[10:11], v[8:9], v[10:11]
	v_cndmask_b32_e64 v5, 0, 2, vcc
	v_add_lshl_u32 v5, v5, v18, 2
	ds_bpermute_b32 v12, v5, v10
	ds_bpermute_b32 v13, v5, v11
	v_cmp_gt_u32_e32 vcc, 60, v19
	s_waitcnt lgkmcnt(0)
	v_pk_add_f32 v[10:11], v[10:11], v[12:13]
	v_cndmask_b32_e64 v5, 0, 4, vcc
	v_add_lshl_u32 v5, v5, v18, 2
	;; [unrolled: 7-line block ×4, first 2 shown]
	ds_bpermute_b32 v12, v5, v10
	ds_bpermute_b32 v13, v5, v11
	s_waitcnt lgkmcnt(0)
	v_pk_add_f32 v[10:11], v[10:11], v[12:13]
	ds_bpermute_b32 v12, v21, v10
	ds_bpermute_b32 v13, v21, v11
	s_waitcnt lgkmcnt(0)
	v_pk_add_f32 v[12:13], v[10:11], v[12:13]
	s_and_saveexec_b64 s[8:9], s[4:5]
; %bb.14:                               ;   in Loop: Header=BB36_8 Depth=1
	ds_write2_b32 v20, v12, v13 offset1:1
; %bb.15:                               ;   in Loop: Header=BB36_8 Depth=1
	s_or_b64 exec, exec, s[8:9]
	s_mov_b64 s[22:23], 0
	s_mov_b64 s[8:9], 0
	s_waitcnt lgkmcnt(0)
	s_barrier
                                        ; implicit-def: $vgpr10_vgpr11
	s_and_saveexec_b64 s[26:27], s[6:7]
	s_xor_b64 s[26:27], exec, s[26:27]
	s_cbranch_execz .LBB36_17
; %bb.16:                               ;   in Loop: Header=BB36_8 Depth=1
	ds_read_b64 v[10:11], v4 offset:16392
	s_mov_b64 s[8:9], exec
	s_waitcnt lgkmcnt(0)
	v_pk_add_f32 v[10:11], v[12:13], v[10:11]
.LBB36_17:                              ;   in Loop: Header=BB36_8 Depth=1
	s_or_b64 exec, exec, s[26:27]
	s_and_b64 vcc, exec, s[22:23]
	s_cbranch_vccnz .LBB36_20
.LBB36_18:                              ;   in Loop: Header=BB36_8 Depth=1
	v_mov_b64_e32 v[8:9], v[10:11]
	s_and_saveexec_b64 s[22:23], s[8:9]
	s_cbranch_execnz .LBB36_21
	s_branch .LBB36_22
.LBB36_19:                              ;   in Loop: Header=BB36_8 Depth=1
	s_mov_b64 s[8:9], 0
                                        ; implicit-def: $vgpr10_vgpr11
	s_cbranch_execz .LBB36_18
.LBB36_20:                              ;   in Loop: Header=BB36_8 Depth=1
	s_andn2_b64 s[8:9], s[8:9], exec
	s_and_b64 s[22:23], s[6:7], exec
	s_or_b64 s[8:9], s[8:9], s[22:23]
	s_and_saveexec_b64 s[22:23], s[8:9]
.LBB36_21:                              ;   in Loop: Header=BB36_8 Depth=1
	ds_write_b64 v4, v[8:9] offset:16384
.LBB36_22:                              ;   in Loop: Header=BB36_8 Depth=1
	s_or_b64 exec, exec, s[22:23]
	s_waitcnt lgkmcnt(0)
	s_barrier
	s_and_saveexec_b64 s[8:9], s[0:1]
	s_cbranch_execz .LBB36_7
; %bb.23:                               ;   in Loop: Header=BB36_8 Depth=1
	global_load_dwordx2 v[10:11], v4, s[12:13]
	ds_read_b64 v[12:13], v4 offset:16384
	s_mov_b64 s[22:23], 0
	v_mov_b32_e32 v5, v16
	v_mov_b64_e32 v[8:9], v[2:3]
	s_waitcnt vmcnt(0) lgkmcnt(0)
	v_mul_f32_e32 v14, v10, v12
	v_mul_f32_e32 v15, v10, v13
	v_fma_f32 v10, v11, v13, -v14
	v_fma_f32 v12, v12, -v11, -v15
	v_mov_b32_e32 v13, v12
	v_mov_b32_e32 v11, v10
	v_mov_b64_e32 v[14:15], v[0:1]
.LBB36_24:                              ;   Parent Loop BB36_8 Depth=1
                                        ; =>  This Inner Loop Header: Depth=2
	flat_load_dwordx2 v[22:23], v[8:9]
	ds_read_b64 v[24:25], v5
	v_lshl_add_u64 v[14:15], v[14:15], 0, s[18:19]
	v_cmp_le_i64_e32 vcc, s[10:11], v[14:15]
	s_or_b64 s[22:23], vcc, s[22:23]
	v_add_u32_e32 v5, 0x400, v5
	s_waitcnt lgkmcnt(0)
	v_pk_mul_f32 v[26:27], v[10:11], v[24:25]
	s_nop 0
	v_pk_fma_f32 v[28:29], v[12:13], v[24:25], v[26:27] op_sel:[0,1,0] op_sel_hi:[1,0,1]
	v_pk_fma_f32 v[24:25], v[12:13], v[24:25], v[26:27] op_sel:[0,1,0] op_sel_hi:[1,0,1] neg_lo:[0,0,1] neg_hi:[0,0,1]
	s_nop 0
	v_mov_b32_e32 v29, v25
	s_waitcnt vmcnt(0)
	v_pk_add_f32 v[22:23], v[22:23], v[28:29]
	flat_store_dwordx2 v[8:9], v[22:23]
	v_lshl_add_u64 v[8:9], v[8:9], 0, s[16:17]
	s_andn2_b64 exec, exec, s[22:23]
	s_cbranch_execnz .LBB36_24
	s_branch .LBB36_7
.LBB36_25:
	s_endpgm
	.section	.rodata,"a",@progbits
	.p2align	6, 0x0
	.amdhsa_kernel _ZN9rocsolver6v33100L23larf_right_kernel_smallILi128E19rocblas_complex_numIfElPKPS3_EEvT1_S7_T2_lS7_lPKT0_lS8_lS7_l
		.amdhsa_group_segment_fixed_size 16400
		.amdhsa_private_segment_fixed_size 0
		.amdhsa_kernarg_size 96
		.amdhsa_user_sgpr_count 2
		.amdhsa_user_sgpr_dispatch_ptr 0
		.amdhsa_user_sgpr_queue_ptr 0
		.amdhsa_user_sgpr_kernarg_segment_ptr 1
		.amdhsa_user_sgpr_dispatch_id 0
		.amdhsa_user_sgpr_kernarg_preload_length 0
		.amdhsa_user_sgpr_kernarg_preload_offset 0
		.amdhsa_user_sgpr_private_segment_size 0
		.amdhsa_uses_dynamic_stack 0
		.amdhsa_enable_private_segment 0
		.amdhsa_system_sgpr_workgroup_id_x 1
		.amdhsa_system_sgpr_workgroup_id_y 1
		.amdhsa_system_sgpr_workgroup_id_z 0
		.amdhsa_system_sgpr_workgroup_info 0
		.amdhsa_system_vgpr_workitem_id 0
		.amdhsa_next_free_vgpr 81
		.amdhsa_next_free_sgpr 96
		.amdhsa_accum_offset 32
		.amdhsa_reserve_vcc 1
		.amdhsa_float_round_mode_32 0
		.amdhsa_float_round_mode_16_64 0
		.amdhsa_float_denorm_mode_32 3
		.amdhsa_float_denorm_mode_16_64 3
		.amdhsa_dx10_clamp 1
		.amdhsa_ieee_mode 1
		.amdhsa_fp16_overflow 0
		.amdhsa_tg_split 0
		.amdhsa_exception_fp_ieee_invalid_op 0
		.amdhsa_exception_fp_denorm_src 0
		.amdhsa_exception_fp_ieee_div_zero 0
		.amdhsa_exception_fp_ieee_overflow 0
		.amdhsa_exception_fp_ieee_underflow 0
		.amdhsa_exception_fp_ieee_inexact 0
		.amdhsa_exception_int_div_zero 0
	.end_amdhsa_kernel
	.section	.text._ZN9rocsolver6v33100L23larf_right_kernel_smallILi128E19rocblas_complex_numIfElPKPS3_EEvT1_S7_T2_lS7_lPKT0_lS8_lS7_l,"axG",@progbits,_ZN9rocsolver6v33100L23larf_right_kernel_smallILi128E19rocblas_complex_numIfElPKPS3_EEvT1_S7_T2_lS7_lPKT0_lS8_lS7_l,comdat
.Lfunc_end36:
	.size	_ZN9rocsolver6v33100L23larf_right_kernel_smallILi128E19rocblas_complex_numIfElPKPS3_EEvT1_S7_T2_lS7_lPKT0_lS8_lS7_l, .Lfunc_end36-_ZN9rocsolver6v33100L23larf_right_kernel_smallILi128E19rocblas_complex_numIfElPKPS3_EEvT1_S7_T2_lS7_lPKT0_lS8_lS7_l
                                        ; -- End function
	.set _ZN9rocsolver6v33100L23larf_right_kernel_smallILi128E19rocblas_complex_numIfElPKPS3_EEvT1_S7_T2_lS7_lPKT0_lS8_lS7_l.num_vgpr, 30
	.set _ZN9rocsolver6v33100L23larf_right_kernel_smallILi128E19rocblas_complex_numIfElPKPS3_EEvT1_S7_T2_lS7_lPKT0_lS8_lS7_l.num_agpr, 0
	.set _ZN9rocsolver6v33100L23larf_right_kernel_smallILi128E19rocblas_complex_numIfElPKPS3_EEvT1_S7_T2_lS7_lPKT0_lS8_lS7_l.numbered_sgpr, 32
	.set _ZN9rocsolver6v33100L23larf_right_kernel_smallILi128E19rocblas_complex_numIfElPKPS3_EEvT1_S7_T2_lS7_lPKT0_lS8_lS7_l.num_named_barrier, 0
	.set _ZN9rocsolver6v33100L23larf_right_kernel_smallILi128E19rocblas_complex_numIfElPKPS3_EEvT1_S7_T2_lS7_lPKT0_lS8_lS7_l.private_seg_size, 0
	.set _ZN9rocsolver6v33100L23larf_right_kernel_smallILi128E19rocblas_complex_numIfElPKPS3_EEvT1_S7_T2_lS7_lPKT0_lS8_lS7_l.uses_vcc, 1
	.set _ZN9rocsolver6v33100L23larf_right_kernel_smallILi128E19rocblas_complex_numIfElPKPS3_EEvT1_S7_T2_lS7_lPKT0_lS8_lS7_l.uses_flat_scratch, 0
	.set _ZN9rocsolver6v33100L23larf_right_kernel_smallILi128E19rocblas_complex_numIfElPKPS3_EEvT1_S7_T2_lS7_lPKT0_lS8_lS7_l.has_dyn_sized_stack, 0
	.set _ZN9rocsolver6v33100L23larf_right_kernel_smallILi128E19rocblas_complex_numIfElPKPS3_EEvT1_S7_T2_lS7_lPKT0_lS8_lS7_l.has_recursion, 0
	.set _ZN9rocsolver6v33100L23larf_right_kernel_smallILi128E19rocblas_complex_numIfElPKPS3_EEvT1_S7_T2_lS7_lPKT0_lS8_lS7_l.has_indirect_call, 0
	.section	.AMDGPU.csdata,"",@progbits
; Kernel info:
; codeLenInByte = 1344
; TotalNumSgprs: 38
; NumVgprs: 30
; NumAgprs: 0
; TotalNumVgprs: 30
; ScratchSize: 0
; MemoryBound: 0
; FloatMode: 240
; IeeeMode: 1
; LDSByteSize: 16400 bytes/workgroup (compile time only)
; SGPRBlocks: 12
; VGPRBlocks: 10
; NumSGPRsForWavesPerEU: 102
; NumVGPRsForWavesPerEU: 81
; AccumOffset: 32
; Occupancy: 5
; WaveLimiterHint : 1
; COMPUTE_PGM_RSRC2:SCRATCH_EN: 0
; COMPUTE_PGM_RSRC2:USER_SGPR: 2
; COMPUTE_PGM_RSRC2:TRAP_HANDLER: 0
; COMPUTE_PGM_RSRC2:TGID_X_EN: 1
; COMPUTE_PGM_RSRC2:TGID_Y_EN: 1
; COMPUTE_PGM_RSRC2:TGID_Z_EN: 0
; COMPUTE_PGM_RSRC2:TIDIG_COMP_CNT: 0
; COMPUTE_PGM_RSRC3_GFX90A:ACCUM_OFFSET: 7
; COMPUTE_PGM_RSRC3_GFX90A:TG_SPLIT: 0
	.section	.text._ZN9rocsolver6v33100L23larf_right_kernel_smallILi256E19rocblas_complex_numIfElPKPS3_EEvT1_S7_T2_lS7_lPKT0_lS8_lS7_l,"axG",@progbits,_ZN9rocsolver6v33100L23larf_right_kernel_smallILi256E19rocblas_complex_numIfElPKPS3_EEvT1_S7_T2_lS7_lPKT0_lS8_lS7_l,comdat
	.globl	_ZN9rocsolver6v33100L23larf_right_kernel_smallILi256E19rocblas_complex_numIfElPKPS3_EEvT1_S7_T2_lS7_lPKT0_lS8_lS7_l ; -- Begin function _ZN9rocsolver6v33100L23larf_right_kernel_smallILi256E19rocblas_complex_numIfElPKPS3_EEvT1_S7_T2_lS7_lPKT0_lS8_lS7_l
	.p2align	8
	.type	_ZN9rocsolver6v33100L23larf_right_kernel_smallILi256E19rocblas_complex_numIfElPKPS3_EEvT1_S7_T2_lS7_lPKT0_lS8_lS7_l,@function
_ZN9rocsolver6v33100L23larf_right_kernel_smallILi256E19rocblas_complex_numIfElPKPS3_EEvT1_S7_T2_lS7_lPKT0_lS8_lS7_l: ; @_ZN9rocsolver6v33100L23larf_right_kernel_smallILi256E19rocblas_complex_numIfElPKPS3_EEvT1_S7_T2_lS7_lPKT0_lS8_lS7_l
; %bb.0:
	s_mov_b32 s24, s3
	s_load_dwordx8 s[8:15], s[0:1], 0x0
	s_load_dwordx2 s[4:5], s[0:1], 0x20
	s_load_dwordx8 s[16:23], s[0:1], 0x30
	s_load_dwordx2 s[26:27], s[0:1], 0x50
	s_mov_b32 s3, 0
	s_lshl_b64 s[0:1], s[2:3], 3
	s_waitcnt lgkmcnt(0)
	s_add_u32 s12, s12, s0
	s_addc_u32 s13, s13, s1
	s_add_u32 s0, s20, s0
	v_cmp_gt_i64_e64 s[6:7], s[4:5], 0
	s_addc_u32 s1, s21, s1
	s_mov_b64 s[28:29], 0
	s_and_b64 vcc, exec, s[6:7]
	s_cbranch_vccnz .LBB37_2
; %bb.1:
	s_sub_u32 s3, 1, s10
	s_subb_u32 s6, 0, s11
	s_mul_i32 s6, s4, s6
	s_mul_hi_u32 s7, s4, s3
	s_add_i32 s6, s7, s6
	s_mul_i32 s7, s5, s3
	s_add_i32 s29, s6, s7
	s_mul_i32 s28, s4, s3
.LBB37_2:
	s_load_dwordx2 s[20:21], s[0:1], 0x0
	v_mov_b32_e32 v1, 0
	v_cmp_gt_i64_e64 s[0:1], s[10:11], v[0:1]
	v_lshlrev_b32_e32 v16, 3, v0
	s_and_saveexec_b64 s[6:7], s[0:1]
	s_cbranch_execz .LBB37_5
; %bb.3:
	s_load_dwordx2 s[12:13], s[12:13], 0x0
	s_lshl_b64 s[28:29], s[28:29], 3
	s_lshl_b64 s[14:15], s[14:15], 3
	v_mad_u64_u32 v[2:3], s[30:31], s4, v0, 0
	s_waitcnt lgkmcnt(0)
	s_add_u32 s3, s12, s14
	v_mov_b32_e32 v4, v3
	s_addc_u32 s13, s13, s15
	v_mad_u64_u32 v[4:5], s[30:31], s5, v0, v[4:5]
	s_add_u32 s12, s3, s28
	v_mov_b32_e32 v3, v4
	s_addc_u32 s13, s13, s29
	v_lshl_add_u64 v[2:3], v[2:3], 3, s[12:13]
	s_lshl_b64 s[4:5], s[4:5], 11
	v_lshlrev_b32_e32 v6, 3, v0
	s_mov_b64 s[12:13], 0
	s_mov_b64 s[14:15], 0x100
	v_mov_b64_e32 v[4:5], v[0:1]
.LBB37_4:                               ; =>This Inner Loop Header: Depth=1
	flat_load_dwordx2 v[8:9], v[2:3]
	v_lshl_add_u64 v[4:5], v[4:5], 0, s[14:15]
	v_cmp_le_i64_e32 vcc, s[10:11], v[4:5]
	v_lshl_add_u64 v[2:3], v[2:3], 0, s[4:5]
	s_or_b64 s[12:13], vcc, s[12:13]
	s_waitcnt vmcnt(0) lgkmcnt(0)
	ds_write_b64 v6, v[8:9]
	v_add_u32_e32 v6, 0x800, v6
	s_andn2_b64 exec, exec, s[12:13]
	s_cbranch_execnz .LBB37_4
.LBB37_5:
	s_or_b64 exec, exec, s[6:7]
	s_mov_b32 s25, 0
	v_mov_b64_e32 v[2:3], s[24:25]
	v_cmp_le_i64_e32 vcc, s[8:9], v[2:3]
	s_waitcnt lgkmcnt(0)
	s_barrier
	s_cbranch_vccnz .LBB37_25
; %bb.6:
	s_lshl_b64 s[22:23], s[22:23], 3
	s_add_u32 s28, s20, s22
	s_mul_i32 s3, s19, s2
	s_mul_hi_u32 s4, s18, s2
	s_addc_u32 s29, s21, s23
	s_add_i32 s3, s4, s3
	s_mul_i32 s2, s18, s2
	s_lshl_b64 s[2:3], s[2:3], 3
	s_add_u32 s12, s16, s2
	v_and_b32_e32 v2, 63, v0
	s_addc_u32 s13, s17, s3
	v_cmp_eq_u32_e64 s[4:5], 0, v2
	v_mad_u64_u32 v[2:3], s[16:17], s26, v0, 0
	v_mov_b32_e32 v4, v3
	s_cmp_gt_i32 s10, 1
	v_mad_u64_u32 v[4:5], s[16:17], s27, v0, v[4:5]
	s_cselect_b64 s[14:15], -1, 0
	s_lshl_b32 s30, s26, 8
	s_lshl_b64 s[16:17], s[24:25], 3
	s_add_u32 s16, s20, s16
	s_addc_u32 s17, s21, s17
	s_add_u32 s16, s16, s22
	v_mbcnt_lo_u32_b32 v5, -1, 0
	v_lshrrev_b32_e32 v6, 3, v0
	v_mov_b32_e32 v3, v4
	s_addc_u32 s17, s17, s23
	v_mbcnt_hi_u32_b32 v18, -1, v5
	v_mov_b32_e32 v5, 0x80
	v_cmp_gt_i32_e64 s[2:3], s10, v0
	v_cmp_eq_u32_e64 s[6:7], 0, v0
	v_mul_lo_u32 v17, v0, s26
	v_lshl_add_u64 v[2:3], v[2:3], 3, s[16:17]
	s_lshl_b64 s[16:17], s[26:27], 11
	v_mov_b32_e32 v4, 0
	v_and_b32_e32 v19, 63, v18
	v_or_b32_e32 v20, 0x4000, v6
	v_mov_b32_e32 v21, 0x4008
	s_mov_b64 s[18:19], 0x100
	s_mov_b64 s[20:21], 0x200
	v_mov_b64_e32 v[6:7], s[8:9]
	v_lshl_or_b32 v22, v18, 2, v5
	s_branch .LBB37_8
.LBB37_7:                               ;   in Loop: Header=BB37_8 Depth=1
	s_or_b64 exec, exec, s[8:9]
	s_add_u32 s24, s24, 64
	s_addc_u32 s25, s25, 0
	v_cmp_ge_i64_e32 vcc, s[24:25], v[6:7]
	v_lshl_add_u64 v[2:3], v[2:3], 0, s[20:21]
	s_cbranch_vccnz .LBB37_25
.LBB37_8:                               ; =>This Loop Header: Depth=1
                                        ;     Child Loop BB37_10 Depth 2
                                        ;     Child Loop BB37_24 Depth 2
	v_mov_b32_e32 v5, v4
	v_mov_b64_e32 v[8:9], v[4:5]
	s_and_saveexec_b64 s[8:9], s[2:3]
	s_cbranch_execz .LBB37_12
; %bb.9:                                ;   in Loop: Header=BB37_8 Depth=1
	s_lshl_b64 s[22:23], s[24:25], 3
	s_add_u32 s22, s28, s22
	s_addc_u32 s23, s29, s23
	v_mov_b32_e32 v9, 0
	s_mov_b64 s[26:27], 0
	v_mov_b32_e32 v10, v17
	v_mov_b32_e32 v5, v16
	v_mov_b32_e32 v12, v0
	v_mov_b32_e32 v8, 0
.LBB37_10:                              ;   Parent Loop BB37_8 Depth=1
                                        ; =>  This Inner Loop Header: Depth=2
	v_ashrrev_i32_e32 v11, 31, v10
	v_lshl_add_u64 v[14:15], v[10:11], 3, s[22:23]
	flat_load_dwordx2 v[14:15], v[14:15]
	ds_read_b64 v[24:25], v5
	v_add_u32_e32 v12, 0x100, v12
	v_cmp_le_i32_e32 vcc, s10, v12
	v_add_u32_e32 v5, 0x800, v5
	v_add_u32_e32 v10, s30, v10
	s_or_b64 s[26:27], vcc, s[26:27]
	s_waitcnt vmcnt(0) lgkmcnt(0)
	v_mul_f32_e32 v11, v15, v25
	v_mul_f32_e32 v13, v14, v25
	v_fma_f32 v11, v14, v24, -v11
	v_fmac_f32_e32 v13, v15, v24
	v_add_f32_e32 v8, v8, v11
	v_add_f32_e32 v9, v9, v13
	s_andn2_b64 exec, exec, s[26:27]
	s_cbranch_execnz .LBB37_10
; %bb.11:                               ;   in Loop: Header=BB37_8 Depth=1
	s_or_b64 exec, exec, s[26:27]
.LBB37_12:                              ;   in Loop: Header=BB37_8 Depth=1
	s_or_b64 exec, exec, s[8:9]
	s_and_b64 vcc, exec, s[14:15]
	s_cbranch_vccz .LBB37_19
; %bb.13:                               ;   in Loop: Header=BB37_8 Depth=1
	v_cmp_ne_u32_e32 vcc, 63, v19
	s_nop 1
	v_addc_co_u32_e32 v5, vcc, 0, v18, vcc
	v_lshlrev_b32_e32 v5, 2, v5
	ds_bpermute_b32 v10, v5, v8
	ds_bpermute_b32 v11, v5, v9
	v_cmp_gt_u32_e32 vcc, 62, v19
	s_waitcnt lgkmcnt(0)
	v_pk_add_f32 v[10:11], v[8:9], v[10:11]
	v_cndmask_b32_e64 v5, 0, 2, vcc
	v_add_lshl_u32 v5, v5, v18, 2
	ds_bpermute_b32 v12, v5, v10
	ds_bpermute_b32 v13, v5, v11
	v_cmp_gt_u32_e32 vcc, 60, v19
	s_waitcnt lgkmcnt(0)
	v_pk_add_f32 v[10:11], v[10:11], v[12:13]
	v_cndmask_b32_e64 v5, 0, 4, vcc
	v_add_lshl_u32 v5, v5, v18, 2
	;; [unrolled: 7-line block ×4, first 2 shown]
	ds_bpermute_b32 v12, v5, v10
	ds_bpermute_b32 v13, v5, v11
	s_waitcnt lgkmcnt(0)
	v_pk_add_f32 v[10:11], v[10:11], v[12:13]
	ds_bpermute_b32 v12, v22, v10
	ds_bpermute_b32 v13, v22, v11
	s_waitcnt lgkmcnt(0)
	v_pk_add_f32 v[12:13], v[10:11], v[12:13]
	s_and_saveexec_b64 s[8:9], s[4:5]
; %bb.14:                               ;   in Loop: Header=BB37_8 Depth=1
	ds_write2_b32 v20, v12, v13 offset1:1
; %bb.15:                               ;   in Loop: Header=BB37_8 Depth=1
	s_or_b64 exec, exec, s[8:9]
	s_mov_b64 s[22:23], 0
	s_mov_b64 s[8:9], 0
	s_waitcnt lgkmcnt(0)
	s_barrier
                                        ; implicit-def: $vgpr10_vgpr11
	s_and_saveexec_b64 s[26:27], s[6:7]
	s_xor_b64 s[26:27], exec, s[26:27]
	s_cbranch_execz .LBB37_17
; %bb.16:                               ;   in Loop: Header=BB37_8 Depth=1
	ds_read2_b64 v[24:27], v21 offset1:1
	ds_read_b64 v[10:11], v4 offset:16408
	s_mov_b64 s[8:9], exec
	s_waitcnt lgkmcnt(0)
	v_pk_add_f32 v[12:13], v[12:13], v[24:25]
	s_nop 0
	v_pk_add_f32 v[12:13], v[12:13], v[26:27]
	s_waitcnt lgkmcnt(0)
	v_pk_add_f32 v[10:11], v[12:13], v[10:11]
.LBB37_17:                              ;   in Loop: Header=BB37_8 Depth=1
	s_or_b64 exec, exec, s[26:27]
	s_and_b64 vcc, exec, s[22:23]
	s_cbranch_vccnz .LBB37_20
.LBB37_18:                              ;   in Loop: Header=BB37_8 Depth=1
	v_mov_b64_e32 v[8:9], v[10:11]
	s_and_saveexec_b64 s[22:23], s[8:9]
	s_cbranch_execnz .LBB37_21
	s_branch .LBB37_22
.LBB37_19:                              ;   in Loop: Header=BB37_8 Depth=1
	s_mov_b64 s[8:9], 0
                                        ; implicit-def: $vgpr10_vgpr11
	s_cbranch_execz .LBB37_18
.LBB37_20:                              ;   in Loop: Header=BB37_8 Depth=1
	s_andn2_b64 s[8:9], s[8:9], exec
	s_and_b64 s[22:23], s[6:7], exec
	s_or_b64 s[8:9], s[8:9], s[22:23]
	s_and_saveexec_b64 s[22:23], s[8:9]
.LBB37_21:                              ;   in Loop: Header=BB37_8 Depth=1
	ds_write_b64 v4, v[8:9] offset:16384
.LBB37_22:                              ;   in Loop: Header=BB37_8 Depth=1
	s_or_b64 exec, exec, s[22:23]
	s_waitcnt lgkmcnt(0)
	s_barrier
	s_and_saveexec_b64 s[8:9], s[0:1]
	s_cbranch_execz .LBB37_7
; %bb.23:                               ;   in Loop: Header=BB37_8 Depth=1
	global_load_dwordx2 v[10:11], v4, s[12:13]
	ds_read_b64 v[12:13], v4 offset:16384
	s_mov_b64 s[22:23], 0
	v_mov_b32_e32 v5, v16
	v_mov_b64_e32 v[8:9], v[2:3]
	s_waitcnt vmcnt(0) lgkmcnt(0)
	v_mul_f32_e32 v14, v10, v12
	v_mul_f32_e32 v15, v10, v13
	v_fma_f32 v10, v11, v13, -v14
	v_fma_f32 v12, v12, -v11, -v15
	v_mov_b32_e32 v13, v12
	v_mov_b32_e32 v11, v10
	v_mov_b64_e32 v[14:15], v[0:1]
.LBB37_24:                              ;   Parent Loop BB37_8 Depth=1
                                        ; =>  This Inner Loop Header: Depth=2
	flat_load_dwordx2 v[24:25], v[8:9]
	ds_read_b64 v[26:27], v5
	v_lshl_add_u64 v[14:15], v[14:15], 0, s[18:19]
	v_cmp_le_i64_e32 vcc, s[10:11], v[14:15]
	s_or_b64 s[22:23], vcc, s[22:23]
	v_add_u32_e32 v5, 0x800, v5
	s_waitcnt lgkmcnt(0)
	v_pk_mul_f32 v[28:29], v[10:11], v[26:27]
	s_nop 0
	v_pk_fma_f32 v[30:31], v[12:13], v[26:27], v[28:29] op_sel:[0,1,0] op_sel_hi:[1,0,1]
	v_pk_fma_f32 v[26:27], v[12:13], v[26:27], v[28:29] op_sel:[0,1,0] op_sel_hi:[1,0,1] neg_lo:[0,0,1] neg_hi:[0,0,1]
	s_nop 0
	v_mov_b32_e32 v31, v27
	s_waitcnt vmcnt(0)
	v_pk_add_f32 v[24:25], v[24:25], v[30:31]
	flat_store_dwordx2 v[8:9], v[24:25]
	v_lshl_add_u64 v[8:9], v[8:9], 0, s[16:17]
	s_andn2_b64 exec, exec, s[22:23]
	s_cbranch_execnz .LBB37_24
	s_branch .LBB37_7
.LBB37_25:
	s_endpgm
	.section	.rodata,"a",@progbits
	.p2align	6, 0x0
	.amdhsa_kernel _ZN9rocsolver6v33100L23larf_right_kernel_smallILi256E19rocblas_complex_numIfElPKPS3_EEvT1_S7_T2_lS7_lPKT0_lS8_lS7_l
		.amdhsa_group_segment_fixed_size 16416
		.amdhsa_private_segment_fixed_size 0
		.amdhsa_kernarg_size 96
		.amdhsa_user_sgpr_count 2
		.amdhsa_user_sgpr_dispatch_ptr 0
		.amdhsa_user_sgpr_queue_ptr 0
		.amdhsa_user_sgpr_kernarg_segment_ptr 1
		.amdhsa_user_sgpr_dispatch_id 0
		.amdhsa_user_sgpr_kernarg_preload_length 0
		.amdhsa_user_sgpr_kernarg_preload_offset 0
		.amdhsa_user_sgpr_private_segment_size 0
		.amdhsa_uses_dynamic_stack 0
		.amdhsa_enable_private_segment 0
		.amdhsa_system_sgpr_workgroup_id_x 1
		.amdhsa_system_sgpr_workgroup_id_y 1
		.amdhsa_system_sgpr_workgroup_id_z 0
		.amdhsa_system_sgpr_workgroup_info 0
		.amdhsa_system_vgpr_workitem_id 0
		.amdhsa_next_free_vgpr 32
		.amdhsa_next_free_sgpr 32
		.amdhsa_accum_offset 32
		.amdhsa_reserve_vcc 1
		.amdhsa_float_round_mode_32 0
		.amdhsa_float_round_mode_16_64 0
		.amdhsa_float_denorm_mode_32 3
		.amdhsa_float_denorm_mode_16_64 3
		.amdhsa_dx10_clamp 1
		.amdhsa_ieee_mode 1
		.amdhsa_fp16_overflow 0
		.amdhsa_tg_split 0
		.amdhsa_exception_fp_ieee_invalid_op 0
		.amdhsa_exception_fp_denorm_src 0
		.amdhsa_exception_fp_ieee_div_zero 0
		.amdhsa_exception_fp_ieee_overflow 0
		.amdhsa_exception_fp_ieee_underflow 0
		.amdhsa_exception_fp_ieee_inexact 0
		.amdhsa_exception_int_div_zero 0
	.end_amdhsa_kernel
	.section	.text._ZN9rocsolver6v33100L23larf_right_kernel_smallILi256E19rocblas_complex_numIfElPKPS3_EEvT1_S7_T2_lS7_lPKT0_lS8_lS7_l,"axG",@progbits,_ZN9rocsolver6v33100L23larf_right_kernel_smallILi256E19rocblas_complex_numIfElPKPS3_EEvT1_S7_T2_lS7_lPKT0_lS8_lS7_l,comdat
.Lfunc_end37:
	.size	_ZN9rocsolver6v33100L23larf_right_kernel_smallILi256E19rocblas_complex_numIfElPKPS3_EEvT1_S7_T2_lS7_lPKT0_lS8_lS7_l, .Lfunc_end37-_ZN9rocsolver6v33100L23larf_right_kernel_smallILi256E19rocblas_complex_numIfElPKPS3_EEvT1_S7_T2_lS7_lPKT0_lS8_lS7_l
                                        ; -- End function
	.set _ZN9rocsolver6v33100L23larf_right_kernel_smallILi256E19rocblas_complex_numIfElPKPS3_EEvT1_S7_T2_lS7_lPKT0_lS8_lS7_l.num_vgpr, 32
	.set _ZN9rocsolver6v33100L23larf_right_kernel_smallILi256E19rocblas_complex_numIfElPKPS3_EEvT1_S7_T2_lS7_lPKT0_lS8_lS7_l.num_agpr, 0
	.set _ZN9rocsolver6v33100L23larf_right_kernel_smallILi256E19rocblas_complex_numIfElPKPS3_EEvT1_S7_T2_lS7_lPKT0_lS8_lS7_l.numbered_sgpr, 32
	.set _ZN9rocsolver6v33100L23larf_right_kernel_smallILi256E19rocblas_complex_numIfElPKPS3_EEvT1_S7_T2_lS7_lPKT0_lS8_lS7_l.num_named_barrier, 0
	.set _ZN9rocsolver6v33100L23larf_right_kernel_smallILi256E19rocblas_complex_numIfElPKPS3_EEvT1_S7_T2_lS7_lPKT0_lS8_lS7_l.private_seg_size, 0
	.set _ZN9rocsolver6v33100L23larf_right_kernel_smallILi256E19rocblas_complex_numIfElPKPS3_EEvT1_S7_T2_lS7_lPKT0_lS8_lS7_l.uses_vcc, 1
	.set _ZN9rocsolver6v33100L23larf_right_kernel_smallILi256E19rocblas_complex_numIfElPKPS3_EEvT1_S7_T2_lS7_lPKT0_lS8_lS7_l.uses_flat_scratch, 0
	.set _ZN9rocsolver6v33100L23larf_right_kernel_smallILi256E19rocblas_complex_numIfElPKPS3_EEvT1_S7_T2_lS7_lPKT0_lS8_lS7_l.has_dyn_sized_stack, 0
	.set _ZN9rocsolver6v33100L23larf_right_kernel_smallILi256E19rocblas_complex_numIfElPKPS3_EEvT1_S7_T2_lS7_lPKT0_lS8_lS7_l.has_recursion, 0
	.set _ZN9rocsolver6v33100L23larf_right_kernel_smallILi256E19rocblas_complex_numIfElPKPS3_EEvT1_S7_T2_lS7_lPKT0_lS8_lS7_l.has_indirect_call, 0
	.section	.AMDGPU.csdata,"",@progbits
; Kernel info:
; codeLenInByte = 1384
; TotalNumSgprs: 38
; NumVgprs: 32
; NumAgprs: 0
; TotalNumVgprs: 32
; ScratchSize: 0
; MemoryBound: 0
; FloatMode: 240
; IeeeMode: 1
; LDSByteSize: 16416 bytes/workgroup (compile time only)
; SGPRBlocks: 4
; VGPRBlocks: 3
; NumSGPRsForWavesPerEU: 38
; NumVGPRsForWavesPerEU: 32
; AccumOffset: 32
; Occupancy: 8
; WaveLimiterHint : 1
; COMPUTE_PGM_RSRC2:SCRATCH_EN: 0
; COMPUTE_PGM_RSRC2:USER_SGPR: 2
; COMPUTE_PGM_RSRC2:TRAP_HANDLER: 0
; COMPUTE_PGM_RSRC2:TGID_X_EN: 1
; COMPUTE_PGM_RSRC2:TGID_Y_EN: 1
; COMPUTE_PGM_RSRC2:TGID_Z_EN: 0
; COMPUTE_PGM_RSRC2:TIDIG_COMP_CNT: 0
; COMPUTE_PGM_RSRC3_GFX90A:ACCUM_OFFSET: 7
; COMPUTE_PGM_RSRC3_GFX90A:TG_SPLIT: 0
	.section	.text._ZN9rocsolver6v33100L23larf_right_kernel_smallILi512E19rocblas_complex_numIfElPKPS3_EEvT1_S7_T2_lS7_lPKT0_lS8_lS7_l,"axG",@progbits,_ZN9rocsolver6v33100L23larf_right_kernel_smallILi512E19rocblas_complex_numIfElPKPS3_EEvT1_S7_T2_lS7_lPKT0_lS8_lS7_l,comdat
	.globl	_ZN9rocsolver6v33100L23larf_right_kernel_smallILi512E19rocblas_complex_numIfElPKPS3_EEvT1_S7_T2_lS7_lPKT0_lS8_lS7_l ; -- Begin function _ZN9rocsolver6v33100L23larf_right_kernel_smallILi512E19rocblas_complex_numIfElPKPS3_EEvT1_S7_T2_lS7_lPKT0_lS8_lS7_l
	.p2align	8
	.type	_ZN9rocsolver6v33100L23larf_right_kernel_smallILi512E19rocblas_complex_numIfElPKPS3_EEvT1_S7_T2_lS7_lPKT0_lS8_lS7_l,@function
_ZN9rocsolver6v33100L23larf_right_kernel_smallILi512E19rocblas_complex_numIfElPKPS3_EEvT1_S7_T2_lS7_lPKT0_lS8_lS7_l: ; @_ZN9rocsolver6v33100L23larf_right_kernel_smallILi512E19rocblas_complex_numIfElPKPS3_EEvT1_S7_T2_lS7_lPKT0_lS8_lS7_l
; %bb.0:
	s_mov_b32 s24, s3
	s_load_dwordx8 s[8:15], s[0:1], 0x0
	s_load_dwordx2 s[4:5], s[0:1], 0x20
	s_load_dwordx8 s[16:23], s[0:1], 0x30
	s_load_dwordx2 s[26:27], s[0:1], 0x50
	s_mov_b32 s3, 0
	s_lshl_b64 s[0:1], s[2:3], 3
	s_waitcnt lgkmcnt(0)
	s_add_u32 s12, s12, s0
	s_addc_u32 s13, s13, s1
	s_add_u32 s0, s20, s0
	v_cmp_gt_i64_e64 s[6:7], s[4:5], 0
	s_addc_u32 s1, s21, s1
	s_mov_b64 s[28:29], 0
	s_and_b64 vcc, exec, s[6:7]
	s_cbranch_vccnz .LBB38_2
; %bb.1:
	s_sub_u32 s3, 1, s10
	s_subb_u32 s6, 0, s11
	s_mul_i32 s6, s4, s6
	s_mul_hi_u32 s7, s4, s3
	s_add_i32 s6, s7, s6
	s_mul_i32 s7, s5, s3
	s_add_i32 s29, s6, s7
	s_mul_i32 s28, s4, s3
.LBB38_2:
	s_load_dwordx2 s[20:21], s[0:1], 0x0
	v_mov_b32_e32 v1, 0
	v_cmp_gt_i64_e64 s[0:1], s[10:11], v[0:1]
	v_lshlrev_b32_e32 v16, 3, v0
	s_and_saveexec_b64 s[6:7], s[0:1]
	s_cbranch_execz .LBB38_5
; %bb.3:
	s_load_dwordx2 s[12:13], s[12:13], 0x0
	s_lshl_b64 s[28:29], s[28:29], 3
	s_lshl_b64 s[14:15], s[14:15], 3
	v_mad_u64_u32 v[2:3], s[30:31], s4, v0, 0
	s_waitcnt lgkmcnt(0)
	s_add_u32 s3, s12, s14
	v_mov_b32_e32 v4, v3
	s_addc_u32 s13, s13, s15
	v_mad_u64_u32 v[4:5], s[30:31], s5, v0, v[4:5]
	s_add_u32 s12, s3, s28
	v_mov_b32_e32 v3, v4
	s_addc_u32 s13, s13, s29
	v_lshl_add_u64 v[2:3], v[2:3], 3, s[12:13]
	s_lshl_b64 s[4:5], s[4:5], 12
	v_lshlrev_b32_e32 v6, 3, v0
	s_mov_b64 s[12:13], 0
	s_mov_b64 s[14:15], 0x200
	v_mov_b64_e32 v[4:5], v[0:1]
.LBB38_4:                               ; =>This Inner Loop Header: Depth=1
	flat_load_dwordx2 v[8:9], v[2:3]
	v_lshl_add_u64 v[4:5], v[4:5], 0, s[14:15]
	v_cmp_le_i64_e32 vcc, s[10:11], v[4:5]
	v_lshl_add_u64 v[2:3], v[2:3], 0, s[4:5]
	s_or_b64 s[12:13], vcc, s[12:13]
	s_waitcnt vmcnt(0) lgkmcnt(0)
	ds_write_b64 v6, v[8:9]
	v_add_u32_e32 v6, 0x1000, v6
	s_andn2_b64 exec, exec, s[12:13]
	s_cbranch_execnz .LBB38_4
.LBB38_5:
	s_or_b64 exec, exec, s[6:7]
	s_mov_b32 s25, 0
	v_mov_b64_e32 v[2:3], s[24:25]
	v_cmp_le_i64_e32 vcc, s[8:9], v[2:3]
	s_waitcnt lgkmcnt(0)
	s_barrier
	s_cbranch_vccnz .LBB38_25
; %bb.6:
	s_lshl_b64 s[22:23], s[22:23], 3
	s_add_u32 s28, s20, s22
	s_mul_i32 s3, s19, s2
	s_mul_hi_u32 s4, s18, s2
	s_addc_u32 s29, s21, s23
	s_add_i32 s3, s4, s3
	s_mul_i32 s2, s18, s2
	s_lshl_b64 s[2:3], s[2:3], 3
	s_add_u32 s12, s16, s2
	v_and_b32_e32 v2, 63, v0
	s_addc_u32 s13, s17, s3
	v_cmp_eq_u32_e64 s[4:5], 0, v2
	v_mad_u64_u32 v[2:3], s[16:17], s26, v0, 0
	v_mov_b32_e32 v4, v3
	s_cmp_gt_i32 s10, 1
	v_mad_u64_u32 v[4:5], s[16:17], s27, v0, v[4:5]
	s_cselect_b64 s[14:15], -1, 0
	s_lshl_b32 s30, s26, 9
	s_lshl_b64 s[16:17], s[24:25], 3
	s_add_u32 s16, s20, s16
	s_addc_u32 s17, s21, s17
	s_add_u32 s16, s16, s22
	v_mbcnt_lo_u32_b32 v5, -1, 0
	v_lshrrev_b32_e32 v6, 3, v0
	v_mov_b32_e32 v3, v4
	s_addc_u32 s17, s17, s23
	v_mbcnt_hi_u32_b32 v18, -1, v5
	v_mov_b32_e32 v5, 0x80
	v_cmp_gt_i32_e64 s[2:3], s10, v0
	v_cmp_eq_u32_e64 s[6:7], 0, v0
	v_mul_lo_u32 v17, v0, s26
	v_lshl_add_u64 v[2:3], v[2:3], 3, s[16:17]
	s_lshl_b64 s[16:17], s[26:27], 12
	v_mov_b32_e32 v4, 0
	v_and_b32_e32 v19, 63, v18
	v_or_b32_e32 v20, 0x4000, v6
	v_mov_b32_e32 v21, 0x4008
	v_mov_b32_e32 v22, 0x4018
	;; [unrolled: 1-line block ×3, first 2 shown]
	s_mov_b64 s[18:19], 0x200
	v_mov_b64_e32 v[6:7], s[8:9]
	v_lshl_or_b32 v24, v18, 2, v5
	s_branch .LBB38_8
.LBB38_7:                               ;   in Loop: Header=BB38_8 Depth=1
	s_or_b64 exec, exec, s[8:9]
	s_add_u32 s24, s24, 64
	s_addc_u32 s25, s25, 0
	v_cmp_ge_i64_e32 vcc, s[24:25], v[6:7]
	v_lshl_add_u64 v[2:3], v[2:3], 0, s[18:19]
	s_cbranch_vccnz .LBB38_25
.LBB38_8:                               ; =>This Loop Header: Depth=1
                                        ;     Child Loop BB38_10 Depth 2
                                        ;     Child Loop BB38_24 Depth 2
	v_mov_b32_e32 v5, v4
	v_mov_b64_e32 v[8:9], v[4:5]
	s_and_saveexec_b64 s[8:9], s[2:3]
	s_cbranch_execz .LBB38_12
; %bb.9:                                ;   in Loop: Header=BB38_8 Depth=1
	s_lshl_b64 s[20:21], s[24:25], 3
	s_add_u32 s20, s28, s20
	v_mov_b32_e32 v8, 0
	s_addc_u32 s21, s29, s21
	s_mov_b64 s[22:23], 0
	v_mov_b32_e32 v10, v17
	v_mov_b32_e32 v5, v16
	;; [unrolled: 1-line block ×4, first 2 shown]
.LBB38_10:                              ;   Parent Loop BB38_8 Depth=1
                                        ; =>  This Inner Loop Header: Depth=2
	v_ashrrev_i32_e32 v11, 31, v10
	v_lshl_add_u64 v[14:15], v[10:11], 3, s[20:21]
	flat_load_dwordx2 v[14:15], v[14:15]
	ds_read_b64 v[26:27], v5
	v_add_u32_e32 v12, 0x200, v12
	v_cmp_le_i32_e32 vcc, s10, v12
	v_add_u32_e32 v5, 0x1000, v5
	v_add_u32_e32 v10, s30, v10
	s_or_b64 s[22:23], vcc, s[22:23]
	s_waitcnt vmcnt(0) lgkmcnt(0)
	v_pk_mul_f32 v[28:29], v[14:15], v[26:27] op_sel:[1,1] op_sel_hi:[0,1]
	v_pk_fma_f32 v[30:31], v[14:15], v[26:27], v[28:29] neg_lo:[0,0,1] neg_hi:[0,0,1]
	v_pk_fma_f32 v[14:15], v[14:15], v[26:27], v[28:29] op_sel_hi:[1,0,1]
	s_nop 0
	v_mov_b32_e32 v31, v15
	v_pk_add_f32 v[8:9], v[8:9], v[30:31]
	s_andn2_b64 exec, exec, s[22:23]
	s_cbranch_execnz .LBB38_10
; %bb.11:                               ;   in Loop: Header=BB38_8 Depth=1
	s_or_b64 exec, exec, s[22:23]
.LBB38_12:                              ;   in Loop: Header=BB38_8 Depth=1
	s_or_b64 exec, exec, s[8:9]
	s_and_b64 vcc, exec, s[14:15]
	s_cbranch_vccz .LBB38_19
; %bb.13:                               ;   in Loop: Header=BB38_8 Depth=1
	v_cmp_ne_u32_e32 vcc, 63, v19
	s_nop 1
	v_addc_co_u32_e32 v5, vcc, 0, v18, vcc
	v_lshlrev_b32_e32 v5, 2, v5
	ds_bpermute_b32 v10, v5, v8
	ds_bpermute_b32 v11, v5, v9
	v_cmp_gt_u32_e32 vcc, 62, v19
	s_waitcnt lgkmcnt(0)
	v_pk_add_f32 v[10:11], v[8:9], v[10:11]
	v_cndmask_b32_e64 v5, 0, 2, vcc
	v_add_lshl_u32 v5, v5, v18, 2
	ds_bpermute_b32 v12, v5, v10
	ds_bpermute_b32 v13, v5, v11
	v_cmp_gt_u32_e32 vcc, 60, v19
	s_waitcnt lgkmcnt(0)
	v_pk_add_f32 v[10:11], v[10:11], v[12:13]
	v_cndmask_b32_e64 v5, 0, 4, vcc
	v_add_lshl_u32 v5, v5, v18, 2
	;; [unrolled: 7-line block ×4, first 2 shown]
	ds_bpermute_b32 v12, v5, v10
	ds_bpermute_b32 v13, v5, v11
	s_waitcnt lgkmcnt(0)
	v_pk_add_f32 v[10:11], v[10:11], v[12:13]
	ds_bpermute_b32 v12, v24, v10
	ds_bpermute_b32 v13, v24, v11
	s_waitcnt lgkmcnt(0)
	v_pk_add_f32 v[10:11], v[10:11], v[12:13]
	s_and_saveexec_b64 s[8:9], s[4:5]
; %bb.14:                               ;   in Loop: Header=BB38_8 Depth=1
	ds_write2_b32 v20, v10, v11 offset1:1
; %bb.15:                               ;   in Loop: Header=BB38_8 Depth=1
	s_or_b64 exec, exec, s[8:9]
	s_mov_b64 s[20:21], 0
	s_mov_b64 s[8:9], 0
	s_waitcnt lgkmcnt(0)
	s_barrier
                                        ; implicit-def: $vgpr12_vgpr13
	s_and_saveexec_b64 s[22:23], s[6:7]
	s_xor_b64 s[22:23], exec, s[22:23]
	s_cbranch_execz .LBB38_17
; %bb.16:                               ;   in Loop: Header=BB38_8 Depth=1
	ds_read2_b64 v[12:15], v21 offset1:1
	ds_read2_b64 v[26:29], v22 offset1:1
	ds_read2_b64 v[30:33], v23 offset1:1
	ds_read_b64 v[34:35], v4 offset:16440
	s_mov_b64 s[8:9], exec
	s_waitcnt lgkmcnt(0)
	v_pk_add_f32 v[10:11], v[10:11], v[12:13]
	s_nop 0
	v_pk_add_f32 v[10:11], v[10:11], v[14:15]
	s_waitcnt lgkmcnt(2)
	v_pk_add_f32 v[10:11], v[10:11], v[26:27]
	s_nop 0
	v_pk_add_f32 v[10:11], v[10:11], v[28:29]
	;; [unrolled: 4-line block ×3, first 2 shown]
	s_waitcnt lgkmcnt(0)
	v_pk_add_f32 v[12:13], v[10:11], v[34:35]
.LBB38_17:                              ;   in Loop: Header=BB38_8 Depth=1
	s_or_b64 exec, exec, s[22:23]
	s_and_b64 vcc, exec, s[20:21]
	s_cbranch_vccnz .LBB38_20
.LBB38_18:                              ;   in Loop: Header=BB38_8 Depth=1
	v_mov_b64_e32 v[8:9], v[12:13]
	s_and_saveexec_b64 s[20:21], s[8:9]
	s_cbranch_execnz .LBB38_21
	s_branch .LBB38_22
.LBB38_19:                              ;   in Loop: Header=BB38_8 Depth=1
	s_mov_b64 s[8:9], 0
                                        ; implicit-def: $vgpr12_vgpr13
	s_cbranch_execz .LBB38_18
.LBB38_20:                              ;   in Loop: Header=BB38_8 Depth=1
	s_andn2_b64 s[8:9], s[8:9], exec
	s_and_b64 s[20:21], s[6:7], exec
	s_or_b64 s[8:9], s[8:9], s[20:21]
	s_and_saveexec_b64 s[20:21], s[8:9]
.LBB38_21:                              ;   in Loop: Header=BB38_8 Depth=1
	ds_write_b64 v4, v[8:9] offset:16384
.LBB38_22:                              ;   in Loop: Header=BB38_8 Depth=1
	s_or_b64 exec, exec, s[20:21]
	s_waitcnt lgkmcnt(0)
	s_barrier
	s_and_saveexec_b64 s[8:9], s[0:1]
	s_cbranch_execz .LBB38_7
; %bb.23:                               ;   in Loop: Header=BB38_8 Depth=1
	global_load_dwordx2 v[10:11], v4, s[12:13]
	ds_read_b64 v[12:13], v4 offset:16384
	s_mov_b64 s[20:21], 0
	v_mov_b32_e32 v5, v16
	v_mov_b64_e32 v[8:9], v[2:3]
	s_waitcnt vmcnt(0) lgkmcnt(0)
	v_mul_f32_e32 v14, v10, v12
	v_mul_f32_e32 v15, v10, v13
	v_fma_f32 v10, v11, v13, -v14
	v_fma_f32 v12, v12, -v11, -v15
	v_mov_b32_e32 v13, v12
	v_mov_b32_e32 v11, v10
	v_mov_b64_e32 v[14:15], v[0:1]
.LBB38_24:                              ;   Parent Loop BB38_8 Depth=1
                                        ; =>  This Inner Loop Header: Depth=2
	flat_load_dwordx2 v[26:27], v[8:9]
	ds_read_b64 v[28:29], v5
	v_lshl_add_u64 v[14:15], v[14:15], 0, s[18:19]
	v_cmp_le_i64_e32 vcc, s[10:11], v[14:15]
	s_or_b64 s[20:21], vcc, s[20:21]
	v_add_u32_e32 v5, 0x1000, v5
	s_waitcnt lgkmcnt(0)
	v_pk_mul_f32 v[30:31], v[10:11], v[28:29]
	s_nop 0
	v_pk_fma_f32 v[32:33], v[12:13], v[28:29], v[30:31] op_sel:[0,1,0] op_sel_hi:[1,0,1]
	v_pk_fma_f32 v[28:29], v[12:13], v[28:29], v[30:31] op_sel:[0,1,0] op_sel_hi:[1,0,1] neg_lo:[0,0,1] neg_hi:[0,0,1]
	s_nop 0
	v_mov_b32_e32 v33, v29
	s_waitcnt vmcnt(0)
	v_pk_add_f32 v[26:27], v[26:27], v[32:33]
	flat_store_dwordx2 v[8:9], v[26:27]
	v_lshl_add_u64 v[8:9], v[8:9], 0, s[16:17]
	s_andn2_b64 exec, exec, s[20:21]
	s_cbranch_execnz .LBB38_24
	s_branch .LBB38_7
.LBB38_25:
	s_endpgm
	.section	.rodata,"a",@progbits
	.p2align	6, 0x0
	.amdhsa_kernel _ZN9rocsolver6v33100L23larf_right_kernel_smallILi512E19rocblas_complex_numIfElPKPS3_EEvT1_S7_T2_lS7_lPKT0_lS8_lS7_l
		.amdhsa_group_segment_fixed_size 16448
		.amdhsa_private_segment_fixed_size 0
		.amdhsa_kernarg_size 96
		.amdhsa_user_sgpr_count 2
		.amdhsa_user_sgpr_dispatch_ptr 0
		.amdhsa_user_sgpr_queue_ptr 0
		.amdhsa_user_sgpr_kernarg_segment_ptr 1
		.amdhsa_user_sgpr_dispatch_id 0
		.amdhsa_user_sgpr_kernarg_preload_length 0
		.amdhsa_user_sgpr_kernarg_preload_offset 0
		.amdhsa_user_sgpr_private_segment_size 0
		.amdhsa_uses_dynamic_stack 0
		.amdhsa_enable_private_segment 0
		.amdhsa_system_sgpr_workgroup_id_x 1
		.amdhsa_system_sgpr_workgroup_id_y 1
		.amdhsa_system_sgpr_workgroup_id_z 0
		.amdhsa_system_sgpr_workgroup_info 0
		.amdhsa_system_vgpr_workitem_id 0
		.amdhsa_next_free_vgpr 36
		.amdhsa_next_free_sgpr 32
		.amdhsa_accum_offset 36
		.amdhsa_reserve_vcc 1
		.amdhsa_float_round_mode_32 0
		.amdhsa_float_round_mode_16_64 0
		.amdhsa_float_denorm_mode_32 3
		.amdhsa_float_denorm_mode_16_64 3
		.amdhsa_dx10_clamp 1
		.amdhsa_ieee_mode 1
		.amdhsa_fp16_overflow 0
		.amdhsa_tg_split 0
		.amdhsa_exception_fp_ieee_invalid_op 0
		.amdhsa_exception_fp_denorm_src 0
		.amdhsa_exception_fp_ieee_div_zero 0
		.amdhsa_exception_fp_ieee_overflow 0
		.amdhsa_exception_fp_ieee_underflow 0
		.amdhsa_exception_fp_ieee_inexact 0
		.amdhsa_exception_int_div_zero 0
	.end_amdhsa_kernel
	.section	.text._ZN9rocsolver6v33100L23larf_right_kernel_smallILi512E19rocblas_complex_numIfElPKPS3_EEvT1_S7_T2_lS7_lPKT0_lS8_lS7_l,"axG",@progbits,_ZN9rocsolver6v33100L23larf_right_kernel_smallILi512E19rocblas_complex_numIfElPKPS3_EEvT1_S7_T2_lS7_lPKT0_lS8_lS7_l,comdat
.Lfunc_end38:
	.size	_ZN9rocsolver6v33100L23larf_right_kernel_smallILi512E19rocblas_complex_numIfElPKPS3_EEvT1_S7_T2_lS7_lPKT0_lS8_lS7_l, .Lfunc_end38-_ZN9rocsolver6v33100L23larf_right_kernel_smallILi512E19rocblas_complex_numIfElPKPS3_EEvT1_S7_T2_lS7_lPKT0_lS8_lS7_l
                                        ; -- End function
	.set _ZN9rocsolver6v33100L23larf_right_kernel_smallILi512E19rocblas_complex_numIfElPKPS3_EEvT1_S7_T2_lS7_lPKT0_lS8_lS7_l.num_vgpr, 36
	.set _ZN9rocsolver6v33100L23larf_right_kernel_smallILi512E19rocblas_complex_numIfElPKPS3_EEvT1_S7_T2_lS7_lPKT0_lS8_lS7_l.num_agpr, 0
	.set _ZN9rocsolver6v33100L23larf_right_kernel_smallILi512E19rocblas_complex_numIfElPKPS3_EEvT1_S7_T2_lS7_lPKT0_lS8_lS7_l.numbered_sgpr, 32
	.set _ZN9rocsolver6v33100L23larf_right_kernel_smallILi512E19rocblas_complex_numIfElPKPS3_EEvT1_S7_T2_lS7_lPKT0_lS8_lS7_l.num_named_barrier, 0
	.set _ZN9rocsolver6v33100L23larf_right_kernel_smallILi512E19rocblas_complex_numIfElPKPS3_EEvT1_S7_T2_lS7_lPKT0_lS8_lS7_l.private_seg_size, 0
	.set _ZN9rocsolver6v33100L23larf_right_kernel_smallILi512E19rocblas_complex_numIfElPKPS3_EEvT1_S7_T2_lS7_lPKT0_lS8_lS7_l.uses_vcc, 1
	.set _ZN9rocsolver6v33100L23larf_right_kernel_smallILi512E19rocblas_complex_numIfElPKPS3_EEvT1_S7_T2_lS7_lPKT0_lS8_lS7_l.uses_flat_scratch, 0
	.set _ZN9rocsolver6v33100L23larf_right_kernel_smallILi512E19rocblas_complex_numIfElPKPS3_EEvT1_S7_T2_lS7_lPKT0_lS8_lS7_l.has_dyn_sized_stack, 0
	.set _ZN9rocsolver6v33100L23larf_right_kernel_smallILi512E19rocblas_complex_numIfElPKPS3_EEvT1_S7_T2_lS7_lPKT0_lS8_lS7_l.has_recursion, 0
	.set _ZN9rocsolver6v33100L23larf_right_kernel_smallILi512E19rocblas_complex_numIfElPKPS3_EEvT1_S7_T2_lS7_lPKT0_lS8_lS7_l.has_indirect_call, 0
	.section	.AMDGPU.csdata,"",@progbits
; Kernel info:
; codeLenInByte = 1468
; TotalNumSgprs: 38
; NumVgprs: 36
; NumAgprs: 0
; TotalNumVgprs: 36
; ScratchSize: 0
; MemoryBound: 0
; FloatMode: 240
; IeeeMode: 1
; LDSByteSize: 16448 bytes/workgroup (compile time only)
; SGPRBlocks: 4
; VGPRBlocks: 4
; NumSGPRsForWavesPerEU: 38
; NumVGPRsForWavesPerEU: 36
; AccumOffset: 36
; Occupancy: 8
; WaveLimiterHint : 1
; COMPUTE_PGM_RSRC2:SCRATCH_EN: 0
; COMPUTE_PGM_RSRC2:USER_SGPR: 2
; COMPUTE_PGM_RSRC2:TRAP_HANDLER: 0
; COMPUTE_PGM_RSRC2:TGID_X_EN: 1
; COMPUTE_PGM_RSRC2:TGID_Y_EN: 1
; COMPUTE_PGM_RSRC2:TGID_Z_EN: 0
; COMPUTE_PGM_RSRC2:TIDIG_COMP_CNT: 0
; COMPUTE_PGM_RSRC3_GFX90A:ACCUM_OFFSET: 8
; COMPUTE_PGM_RSRC3_GFX90A:TG_SPLIT: 0
	.section	.text._ZN9rocsolver6v33100L23larf_right_kernel_smallILi1024E19rocblas_complex_numIfElPKPS3_EEvT1_S7_T2_lS7_lPKT0_lS8_lS7_l,"axG",@progbits,_ZN9rocsolver6v33100L23larf_right_kernel_smallILi1024E19rocblas_complex_numIfElPKPS3_EEvT1_S7_T2_lS7_lPKT0_lS8_lS7_l,comdat
	.globl	_ZN9rocsolver6v33100L23larf_right_kernel_smallILi1024E19rocblas_complex_numIfElPKPS3_EEvT1_S7_T2_lS7_lPKT0_lS8_lS7_l ; -- Begin function _ZN9rocsolver6v33100L23larf_right_kernel_smallILi1024E19rocblas_complex_numIfElPKPS3_EEvT1_S7_T2_lS7_lPKT0_lS8_lS7_l
	.p2align	8
	.type	_ZN9rocsolver6v33100L23larf_right_kernel_smallILi1024E19rocblas_complex_numIfElPKPS3_EEvT1_S7_T2_lS7_lPKT0_lS8_lS7_l,@function
_ZN9rocsolver6v33100L23larf_right_kernel_smallILi1024E19rocblas_complex_numIfElPKPS3_EEvT1_S7_T2_lS7_lPKT0_lS8_lS7_l: ; @_ZN9rocsolver6v33100L23larf_right_kernel_smallILi1024E19rocblas_complex_numIfElPKPS3_EEvT1_S7_T2_lS7_lPKT0_lS8_lS7_l
; %bb.0:
	s_mov_b32 s24, s3
	s_load_dwordx8 s[8:15], s[0:1], 0x0
	s_load_dwordx2 s[4:5], s[0:1], 0x20
	s_load_dwordx8 s[16:23], s[0:1], 0x30
	s_load_dwordx2 s[26:27], s[0:1], 0x50
	s_mov_b32 s3, 0
	s_lshl_b64 s[0:1], s[2:3], 3
	s_waitcnt lgkmcnt(0)
	s_add_u32 s12, s12, s0
	s_addc_u32 s13, s13, s1
	s_add_u32 s0, s20, s0
	v_cmp_gt_i64_e64 s[6:7], s[4:5], 0
	s_addc_u32 s1, s21, s1
	s_mov_b64 s[28:29], 0
	s_and_b64 vcc, exec, s[6:7]
	s_cbranch_vccnz .LBB39_2
; %bb.1:
	s_sub_u32 s3, 1, s10
	s_subb_u32 s6, 0, s11
	s_mul_i32 s6, s4, s6
	s_mul_hi_u32 s7, s4, s3
	s_add_i32 s6, s7, s6
	s_mul_i32 s7, s5, s3
	s_add_i32 s29, s6, s7
	s_mul_i32 s28, s4, s3
.LBB39_2:
	s_load_dwordx2 s[20:21], s[0:1], 0x0
	v_mov_b32_e32 v1, 0
	v_cmp_gt_i64_e64 s[0:1], s[10:11], v[0:1]
	v_lshlrev_b32_e32 v16, 3, v0
	s_and_saveexec_b64 s[6:7], s[0:1]
	s_cbranch_execz .LBB39_5
; %bb.3:
	s_load_dwordx2 s[12:13], s[12:13], 0x0
	s_lshl_b64 s[28:29], s[28:29], 3
	s_lshl_b64 s[14:15], s[14:15], 3
	v_mad_u64_u32 v[2:3], s[30:31], s4, v0, 0
	s_waitcnt lgkmcnt(0)
	s_add_u32 s3, s12, s14
	v_mov_b32_e32 v4, v3
	s_addc_u32 s13, s13, s15
	v_mad_u64_u32 v[4:5], s[30:31], s5, v0, v[4:5]
	s_add_u32 s12, s3, s28
	v_mov_b32_e32 v3, v4
	s_addc_u32 s13, s13, s29
	v_lshl_add_u64 v[2:3], v[2:3], 3, s[12:13]
	s_lshl_b64 s[4:5], s[4:5], 13
	v_lshlrev_b32_e32 v6, 3, v0
	s_mov_b64 s[12:13], 0
	s_mov_b64 s[14:15], 0x400
	v_mov_b64_e32 v[4:5], v[0:1]
.LBB39_4:                               ; =>This Inner Loop Header: Depth=1
	flat_load_dwordx2 v[8:9], v[2:3]
	v_lshl_add_u64 v[4:5], v[4:5], 0, s[14:15]
	v_cmp_le_i64_e32 vcc, s[10:11], v[4:5]
	v_lshl_add_u64 v[2:3], v[2:3], 0, s[4:5]
	s_or_b64 s[12:13], vcc, s[12:13]
	s_waitcnt vmcnt(0) lgkmcnt(0)
	ds_write_b64 v6, v[8:9]
	v_add_u32_e32 v6, 0x2000, v6
	s_andn2_b64 exec, exec, s[12:13]
	s_cbranch_execnz .LBB39_4
.LBB39_5:
	s_or_b64 exec, exec, s[6:7]
	s_mov_b32 s25, 0
	v_mov_b64_e32 v[2:3], s[24:25]
	v_cmp_le_i64_e32 vcc, s[8:9], v[2:3]
	s_waitcnt lgkmcnt(0)
	s_barrier
	s_cbranch_vccnz .LBB39_25
; %bb.6:
	s_lshl_b64 s[22:23], s[22:23], 3
	s_add_u32 s28, s20, s22
	s_mul_i32 s3, s19, s2
	s_mul_hi_u32 s4, s18, s2
	s_addc_u32 s29, s21, s23
	s_add_i32 s3, s4, s3
	s_mul_i32 s2, s18, s2
	s_lshl_b64 s[2:3], s[2:3], 3
	s_add_u32 s12, s16, s2
	v_and_b32_e32 v2, 63, v0
	s_addc_u32 s13, s17, s3
	v_cmp_eq_u32_e64 s[4:5], 0, v2
	v_mad_u64_u32 v[2:3], s[16:17], s26, v0, 0
	v_mov_b32_e32 v4, v3
	s_cmp_gt_i32 s10, 1
	v_mad_u64_u32 v[4:5], s[16:17], s27, v0, v[4:5]
	s_cselect_b64 s[14:15], -1, 0
	s_lshl_b32 s30, s26, 10
	s_lshl_b64 s[16:17], s[24:25], 3
	s_add_u32 s16, s20, s16
	s_addc_u32 s17, s21, s17
	s_add_u32 s16, s16, s22
	v_mbcnt_lo_u32_b32 v5, -1, 0
	v_lshrrev_b32_e32 v6, 3, v0
	v_mov_b32_e32 v3, v4
	s_addc_u32 s17, s17, s23
	v_mbcnt_hi_u32_b32 v18, -1, v5
	v_mov_b32_e32 v5, 0x80
	v_cmp_gt_i32_e64 s[2:3], s10, v0
	v_cmp_eq_u32_e64 s[6:7], 0, v0
	v_mul_lo_u32 v17, v0, s26
	v_lshl_add_u64 v[2:3], v[2:3], 3, s[16:17]
	s_lshl_b64 s[16:17], s[26:27], 13
	v_mov_b32_e32 v4, 0
	v_and_b32_e32 v19, 63, v18
	v_or_b32_e32 v20, 0x4000, v6
	v_mov_b32_e32 v21, 0x4008
	v_mov_b32_e32 v22, 0x4018
	v_mov_b32_e32 v23, 0x4028
	v_mov_b32_e32 v24, 0x4038
	v_mov_b32_e32 v25, 0x4048
	v_mov_b32_e32 v26, 0x4058
	v_mov_b32_e32 v27, 0x4068
	s_mov_b64 s[18:19], 0x400
	s_mov_b64 s[20:21], 0x200
	v_lshl_or_b32 v28, v18, 2, v5
	v_mov_b64_e32 v[6:7], s[8:9]
	s_branch .LBB39_8
.LBB39_7:                               ;   in Loop: Header=BB39_8 Depth=1
	s_or_b64 exec, exec, s[8:9]
	s_add_u32 s24, s24, 64
	s_addc_u32 s25, s25, 0
	v_cmp_ge_i64_e32 vcc, s[24:25], v[6:7]
	v_lshl_add_u64 v[2:3], v[2:3], 0, s[20:21]
	s_cbranch_vccnz .LBB39_25
.LBB39_8:                               ; =>This Loop Header: Depth=1
                                        ;     Child Loop BB39_10 Depth 2
                                        ;     Child Loop BB39_24 Depth 2
	v_mov_b32_e32 v5, v4
	v_mov_b64_e32 v[8:9], v[4:5]
	s_and_saveexec_b64 s[8:9], s[2:3]
	s_cbranch_execz .LBB39_12
; %bb.9:                                ;   in Loop: Header=BB39_8 Depth=1
	s_lshl_b64 s[22:23], s[24:25], 3
	s_add_u32 s22, s28, s22
	v_mov_b32_e32 v8, 0
	s_addc_u32 s23, s29, s23
	s_mov_b64 s[26:27], 0
	v_mov_b32_e32 v10, v17
	v_mov_b32_e32 v5, v16
	;; [unrolled: 1-line block ×4, first 2 shown]
.LBB39_10:                              ;   Parent Loop BB39_8 Depth=1
                                        ; =>  This Inner Loop Header: Depth=2
	v_ashrrev_i32_e32 v11, 31, v10
	v_lshl_add_u64 v[14:15], v[10:11], 3, s[22:23]
	flat_load_dwordx2 v[14:15], v[14:15]
	ds_read_b64 v[30:31], v5
	v_add_u32_e32 v12, 0x400, v12
	v_cmp_le_i32_e32 vcc, s10, v12
	v_add_u32_e32 v5, 0x2000, v5
	v_add_u32_e32 v10, s30, v10
	s_or_b64 s[26:27], vcc, s[26:27]
	s_waitcnt vmcnt(0) lgkmcnt(0)
	v_pk_mul_f32 v[32:33], v[14:15], v[30:31] op_sel:[1,1] op_sel_hi:[0,1]
	v_pk_fma_f32 v[34:35], v[14:15], v[30:31], v[32:33] neg_lo:[0,0,1] neg_hi:[0,0,1]
	v_pk_fma_f32 v[14:15], v[14:15], v[30:31], v[32:33] op_sel_hi:[1,0,1]
	s_nop 0
	v_mov_b32_e32 v35, v15
	v_pk_add_f32 v[8:9], v[8:9], v[34:35]
	s_andn2_b64 exec, exec, s[26:27]
	s_cbranch_execnz .LBB39_10
; %bb.11:                               ;   in Loop: Header=BB39_8 Depth=1
	s_or_b64 exec, exec, s[26:27]
.LBB39_12:                              ;   in Loop: Header=BB39_8 Depth=1
	s_or_b64 exec, exec, s[8:9]
	s_and_b64 vcc, exec, s[14:15]
	s_cbranch_vccz .LBB39_19
; %bb.13:                               ;   in Loop: Header=BB39_8 Depth=1
	v_cmp_ne_u32_e32 vcc, 63, v19
	s_nop 1
	v_addc_co_u32_e32 v5, vcc, 0, v18, vcc
	v_lshlrev_b32_e32 v5, 2, v5
	ds_bpermute_b32 v10, v5, v8
	ds_bpermute_b32 v11, v5, v9
	v_cmp_gt_u32_e32 vcc, 62, v19
	s_waitcnt lgkmcnt(0)
	v_pk_add_f32 v[10:11], v[8:9], v[10:11]
	v_cndmask_b32_e64 v5, 0, 2, vcc
	v_add_lshl_u32 v5, v5, v18, 2
	ds_bpermute_b32 v12, v5, v10
	ds_bpermute_b32 v13, v5, v11
	v_cmp_gt_u32_e32 vcc, 60, v19
	s_waitcnt lgkmcnt(0)
	v_pk_add_f32 v[10:11], v[10:11], v[12:13]
	v_cndmask_b32_e64 v5, 0, 4, vcc
	v_add_lshl_u32 v5, v5, v18, 2
	;; [unrolled: 7-line block ×4, first 2 shown]
	ds_bpermute_b32 v12, v5, v10
	ds_bpermute_b32 v13, v5, v11
	s_waitcnt lgkmcnt(0)
	v_pk_add_f32 v[10:11], v[10:11], v[12:13]
	ds_bpermute_b32 v12, v28, v10
	ds_bpermute_b32 v13, v28, v11
	s_waitcnt lgkmcnt(0)
	v_pk_add_f32 v[10:11], v[10:11], v[12:13]
	s_and_saveexec_b64 s[8:9], s[4:5]
; %bb.14:                               ;   in Loop: Header=BB39_8 Depth=1
	ds_write2_b32 v20, v10, v11 offset1:1
; %bb.15:                               ;   in Loop: Header=BB39_8 Depth=1
	s_or_b64 exec, exec, s[8:9]
	s_mov_b64 s[22:23], 0
	s_mov_b64 s[8:9], 0
	s_waitcnt lgkmcnt(0)
	s_barrier
                                        ; implicit-def: $vgpr12_vgpr13
	s_and_saveexec_b64 s[26:27], s[6:7]
	s_xor_b64 s[26:27], exec, s[26:27]
	s_cbranch_execz .LBB39_17
; %bb.16:                               ;   in Loop: Header=BB39_8 Depth=1
	ds_read2_b64 v[12:15], v21 offset1:1
	ds_read2_b64 v[30:33], v22 offset1:1
	;; [unrolled: 1-line block ×3, first 2 shown]
	ds_read_b64 v[38:39], v4 offset:16504
	s_mov_b64 s[8:9], exec
	s_waitcnt lgkmcnt(0)
	v_pk_add_f32 v[10:11], v[10:11], v[12:13]
	s_nop 0
	v_pk_add_f32 v[10:11], v[10:11], v[14:15]
	s_waitcnt lgkmcnt(2)
	v_pk_add_f32 v[14:15], v[10:11], v[30:31]
	ds_read2_b64 v[10:13], v24 offset1:1
	v_pk_add_f32 v[14:15], v[14:15], v[32:33]
	ds_read2_b64 v[30:33], v25 offset1:1
	s_waitcnt lgkmcnt(3)
	v_pk_add_f32 v[14:15], v[14:15], v[34:35]
	s_nop 0
	v_pk_add_f32 v[14:15], v[14:15], v[36:37]
	ds_read2_b64 v[34:37], v26 offset1:1
	s_waitcnt lgkmcnt(0)
	v_pk_add_f32 v[10:11], v[14:15], v[10:11]
	s_nop 0
	;; [unrolled: 5-line block ×3, first 2 shown]
	v_pk_add_f32 v[14:15], v[14:15], v[32:33]
	s_waitcnt lgkmcnt(1)
	v_pk_add_f32 v[14:15], v[14:15], v[34:35]
	s_nop 0
	v_pk_add_f32 v[14:15], v[14:15], v[36:37]
	s_waitcnt lgkmcnt(0)
	v_pk_add_f32 v[10:11], v[14:15], v[10:11]
	s_nop 0
	v_pk_add_f32 v[10:11], v[10:11], v[12:13]
	s_nop 0
	v_pk_add_f32 v[12:13], v[10:11], v[38:39]
.LBB39_17:                              ;   in Loop: Header=BB39_8 Depth=1
	s_or_b64 exec, exec, s[26:27]
	s_and_b64 vcc, exec, s[22:23]
	s_cbranch_vccnz .LBB39_20
.LBB39_18:                              ;   in Loop: Header=BB39_8 Depth=1
	v_mov_b64_e32 v[8:9], v[12:13]
	s_and_saveexec_b64 s[22:23], s[8:9]
	s_cbranch_execnz .LBB39_21
	s_branch .LBB39_22
.LBB39_19:                              ;   in Loop: Header=BB39_8 Depth=1
	s_mov_b64 s[8:9], 0
                                        ; implicit-def: $vgpr12_vgpr13
	s_cbranch_execz .LBB39_18
.LBB39_20:                              ;   in Loop: Header=BB39_8 Depth=1
	s_andn2_b64 s[8:9], s[8:9], exec
	s_and_b64 s[22:23], s[6:7], exec
	s_or_b64 s[8:9], s[8:9], s[22:23]
	s_and_saveexec_b64 s[22:23], s[8:9]
.LBB39_21:                              ;   in Loop: Header=BB39_8 Depth=1
	ds_write_b64 v4, v[8:9] offset:16384
.LBB39_22:                              ;   in Loop: Header=BB39_8 Depth=1
	s_or_b64 exec, exec, s[22:23]
	s_waitcnt lgkmcnt(0)
	s_barrier
	s_and_saveexec_b64 s[8:9], s[0:1]
	s_cbranch_execz .LBB39_7
; %bb.23:                               ;   in Loop: Header=BB39_8 Depth=1
	global_load_dwordx2 v[10:11], v4, s[12:13]
	ds_read_b64 v[12:13], v4 offset:16384
	s_mov_b64 s[22:23], 0
	v_mov_b32_e32 v5, v16
	v_mov_b64_e32 v[8:9], v[2:3]
	s_waitcnt vmcnt(0) lgkmcnt(0)
	v_mul_f32_e32 v14, v10, v12
	v_mul_f32_e32 v15, v10, v13
	v_fma_f32 v10, v11, v13, -v14
	v_fma_f32 v12, v12, -v11, -v15
	v_mov_b32_e32 v13, v12
	v_mov_b32_e32 v11, v10
	v_mov_b64_e32 v[14:15], v[0:1]
.LBB39_24:                              ;   Parent Loop BB39_8 Depth=1
                                        ; =>  This Inner Loop Header: Depth=2
	flat_load_dwordx2 v[30:31], v[8:9]
	ds_read_b64 v[32:33], v5
	v_lshl_add_u64 v[14:15], v[14:15], 0, s[18:19]
	v_cmp_le_i64_e32 vcc, s[10:11], v[14:15]
	s_or_b64 s[22:23], vcc, s[22:23]
	v_add_u32_e32 v5, 0x2000, v5
	s_waitcnt lgkmcnt(0)
	v_pk_mul_f32 v[34:35], v[10:11], v[32:33]
	s_nop 0
	v_pk_fma_f32 v[36:37], v[12:13], v[32:33], v[34:35] op_sel:[0,1,0] op_sel_hi:[1,0,1]
	v_pk_fma_f32 v[32:33], v[12:13], v[32:33], v[34:35] op_sel:[0,1,0] op_sel_hi:[1,0,1] neg_lo:[0,0,1] neg_hi:[0,0,1]
	s_nop 0
	v_mov_b32_e32 v37, v33
	s_waitcnt vmcnt(0)
	v_pk_add_f32 v[30:31], v[30:31], v[36:37]
	flat_store_dwordx2 v[8:9], v[30:31]
	v_lshl_add_u64 v[8:9], v[8:9], 0, s[16:17]
	s_andn2_b64 exec, exec, s[22:23]
	s_cbranch_execnz .LBB39_24
	s_branch .LBB39_7
.LBB39_25:
	s_endpgm
	.section	.rodata,"a",@progbits
	.p2align	6, 0x0
	.amdhsa_kernel _ZN9rocsolver6v33100L23larf_right_kernel_smallILi1024E19rocblas_complex_numIfElPKPS3_EEvT1_S7_T2_lS7_lPKT0_lS8_lS7_l
		.amdhsa_group_segment_fixed_size 16512
		.amdhsa_private_segment_fixed_size 0
		.amdhsa_kernarg_size 96
		.amdhsa_user_sgpr_count 2
		.amdhsa_user_sgpr_dispatch_ptr 0
		.amdhsa_user_sgpr_queue_ptr 0
		.amdhsa_user_sgpr_kernarg_segment_ptr 1
		.amdhsa_user_sgpr_dispatch_id 0
		.amdhsa_user_sgpr_kernarg_preload_length 0
		.amdhsa_user_sgpr_kernarg_preload_offset 0
		.amdhsa_user_sgpr_private_segment_size 0
		.amdhsa_uses_dynamic_stack 0
		.amdhsa_enable_private_segment 0
		.amdhsa_system_sgpr_workgroup_id_x 1
		.amdhsa_system_sgpr_workgroup_id_y 1
		.amdhsa_system_sgpr_workgroup_id_z 0
		.amdhsa_system_sgpr_workgroup_info 0
		.amdhsa_system_vgpr_workitem_id 0
		.amdhsa_next_free_vgpr 40
		.amdhsa_next_free_sgpr 32
		.amdhsa_accum_offset 40
		.amdhsa_reserve_vcc 1
		.amdhsa_float_round_mode_32 0
		.amdhsa_float_round_mode_16_64 0
		.amdhsa_float_denorm_mode_32 3
		.amdhsa_float_denorm_mode_16_64 3
		.amdhsa_dx10_clamp 1
		.amdhsa_ieee_mode 1
		.amdhsa_fp16_overflow 0
		.amdhsa_tg_split 0
		.amdhsa_exception_fp_ieee_invalid_op 0
		.amdhsa_exception_fp_denorm_src 0
		.amdhsa_exception_fp_ieee_div_zero 0
		.amdhsa_exception_fp_ieee_overflow 0
		.amdhsa_exception_fp_ieee_underflow 0
		.amdhsa_exception_fp_ieee_inexact 0
		.amdhsa_exception_int_div_zero 0
	.end_amdhsa_kernel
	.section	.text._ZN9rocsolver6v33100L23larf_right_kernel_smallILi1024E19rocblas_complex_numIfElPKPS3_EEvT1_S7_T2_lS7_lPKT0_lS8_lS7_l,"axG",@progbits,_ZN9rocsolver6v33100L23larf_right_kernel_smallILi1024E19rocblas_complex_numIfElPKPS3_EEvT1_S7_T2_lS7_lPKT0_lS8_lS7_l,comdat
.Lfunc_end39:
	.size	_ZN9rocsolver6v33100L23larf_right_kernel_smallILi1024E19rocblas_complex_numIfElPKPS3_EEvT1_S7_T2_lS7_lPKT0_lS8_lS7_l, .Lfunc_end39-_ZN9rocsolver6v33100L23larf_right_kernel_smallILi1024E19rocblas_complex_numIfElPKPS3_EEvT1_S7_T2_lS7_lPKT0_lS8_lS7_l
                                        ; -- End function
	.set _ZN9rocsolver6v33100L23larf_right_kernel_smallILi1024E19rocblas_complex_numIfElPKPS3_EEvT1_S7_T2_lS7_lPKT0_lS8_lS7_l.num_vgpr, 40
	.set _ZN9rocsolver6v33100L23larf_right_kernel_smallILi1024E19rocblas_complex_numIfElPKPS3_EEvT1_S7_T2_lS7_lPKT0_lS8_lS7_l.num_agpr, 0
	.set _ZN9rocsolver6v33100L23larf_right_kernel_smallILi1024E19rocblas_complex_numIfElPKPS3_EEvT1_S7_T2_lS7_lPKT0_lS8_lS7_l.numbered_sgpr, 32
	.set _ZN9rocsolver6v33100L23larf_right_kernel_smallILi1024E19rocblas_complex_numIfElPKPS3_EEvT1_S7_T2_lS7_lPKT0_lS8_lS7_l.num_named_barrier, 0
	.set _ZN9rocsolver6v33100L23larf_right_kernel_smallILi1024E19rocblas_complex_numIfElPKPS3_EEvT1_S7_T2_lS7_lPKT0_lS8_lS7_l.private_seg_size, 0
	.set _ZN9rocsolver6v33100L23larf_right_kernel_smallILi1024E19rocblas_complex_numIfElPKPS3_EEvT1_S7_T2_lS7_lPKT0_lS8_lS7_l.uses_vcc, 1
	.set _ZN9rocsolver6v33100L23larf_right_kernel_smallILi1024E19rocblas_complex_numIfElPKPS3_EEvT1_S7_T2_lS7_lPKT0_lS8_lS7_l.uses_flat_scratch, 0
	.set _ZN9rocsolver6v33100L23larf_right_kernel_smallILi1024E19rocblas_complex_numIfElPKPS3_EEvT1_S7_T2_lS7_lPKT0_lS8_lS7_l.has_dyn_sized_stack, 0
	.set _ZN9rocsolver6v33100L23larf_right_kernel_smallILi1024E19rocblas_complex_numIfElPKPS3_EEvT1_S7_T2_lS7_lPKT0_lS8_lS7_l.has_recursion, 0
	.set _ZN9rocsolver6v33100L23larf_right_kernel_smallILi1024E19rocblas_complex_numIfElPKPS3_EEvT1_S7_T2_lS7_lPKT0_lS8_lS7_l.has_indirect_call, 0
	.section	.AMDGPU.csdata,"",@progbits
; Kernel info:
; codeLenInByte = 1632
; TotalNumSgprs: 38
; NumVgprs: 40
; NumAgprs: 0
; TotalNumVgprs: 40
; ScratchSize: 0
; MemoryBound: 0
; FloatMode: 240
; IeeeMode: 1
; LDSByteSize: 16512 bytes/workgroup (compile time only)
; SGPRBlocks: 4
; VGPRBlocks: 4
; NumSGPRsForWavesPerEU: 38
; NumVGPRsForWavesPerEU: 40
; AccumOffset: 40
; Occupancy: 8
; WaveLimiterHint : 1
; COMPUTE_PGM_RSRC2:SCRATCH_EN: 0
; COMPUTE_PGM_RSRC2:USER_SGPR: 2
; COMPUTE_PGM_RSRC2:TRAP_HANDLER: 0
; COMPUTE_PGM_RSRC2:TGID_X_EN: 1
; COMPUTE_PGM_RSRC2:TGID_Y_EN: 1
; COMPUTE_PGM_RSRC2:TGID_Z_EN: 0
; COMPUTE_PGM_RSRC2:TIDIG_COMP_CNT: 0
; COMPUTE_PGM_RSRC3_GFX90A:ACCUM_OFFSET: 9
; COMPUTE_PGM_RSRC3_GFX90A:TG_SPLIT: 0
	.section	.AMDGPU.gpr_maximums,"",@progbits
	.set amdgpu.max_num_vgpr, 0
	.set amdgpu.max_num_agpr, 0
	.set amdgpu.max_num_sgpr, 0
	.section	.AMDGPU.csdata,"",@progbits
	.type	__hip_cuid_e60184cf9fa30bef,@object ; @__hip_cuid_e60184cf9fa30bef
	.section	.bss,"aw",@nobits
	.globl	__hip_cuid_e60184cf9fa30bef
__hip_cuid_e60184cf9fa30bef:
	.byte	0                               ; 0x0
	.size	__hip_cuid_e60184cf9fa30bef, 1

	.ident	"AMD clang version 22.0.0git (https://github.com/RadeonOpenCompute/llvm-project roc-7.2.4 26084 f58b06dce1f9c15707c5f808fd002e18c2accf7e)"
	.section	".note.GNU-stack","",@progbits
	.addrsig
	.addrsig_sym __hip_cuid_e60184cf9fa30bef
	.amdgpu_metadata
---
amdhsa.kernels:
  - .agpr_count:     0
    .args:
      - .offset:         0
        .size:           4
        .value_kind:     by_value
      - .offset:         4
        .size:           4
        .value_kind:     by_value
      - .address_space:  global
        .offset:         8
        .size:           8
        .value_kind:     global_buffer
      - .offset:         16
        .size:           8
        .value_kind:     by_value
      - .offset:         24
        .size:           4
        .value_kind:     by_value
      - .offset:         32
        .size:           8
        .value_kind:     by_value
      - .address_space:  global
        .offset:         40
        .size:           8
        .value_kind:     global_buffer
      - .offset:         48
        .size:           8
        .value_kind:     by_value
      - .address_space:  global
        .offset:         56
        .size:           8
        .value_kind:     global_buffer
      - .offset:         64
        .size:           8
        .value_kind:     by_value
      - .offset:         72
        .size:           4
        .value_kind:     by_value
      - .offset:         80
        .size:           8
        .value_kind:     by_value
    .group_segment_fixed_size: 16896
    .kernarg_segment_align: 8
    .kernarg_segment_size: 88
    .language:       OpenCL C
    .language_version:
      - 2
      - 0
    .max_flat_workgroup_size: 64
    .name:           _ZN9rocsolver6v33100L22larf_left_kernel_smallILi64E19rocblas_complex_numIfEiPS3_EEvT1_S5_T2_lS5_lPKT0_lS6_lS5_l
    .private_segment_fixed_size: 0
    .sgpr_count:     53
    .sgpr_spill_count: 0
    .symbol:         _ZN9rocsolver6v33100L22larf_left_kernel_smallILi64E19rocblas_complex_numIfEiPS3_EEvT1_S5_T2_lS5_lPKT0_lS6_lS5_l.kd
    .uniform_work_group_size: 1
    .uses_dynamic_stack: false
    .vgpr_count:     46
    .vgpr_spill_count: 0
    .wavefront_size: 64
  - .agpr_count:     0
    .args:
      - .offset:         0
        .size:           4
        .value_kind:     by_value
      - .offset:         4
        .size:           4
        .value_kind:     by_value
      - .address_space:  global
        .offset:         8
        .size:           8
        .value_kind:     global_buffer
      - .offset:         16
        .size:           8
        .value_kind:     by_value
      - .offset:         24
        .size:           4
        .value_kind:     by_value
      - .offset:         32
        .size:           8
        .value_kind:     by_value
      - .address_space:  global
        .offset:         40
        .size:           8
        .value_kind:     global_buffer
      - .offset:         48
        .size:           8
        .value_kind:     by_value
      - .address_space:  global
        .offset:         56
        .size:           8
        .value_kind:     global_buffer
      - .offset:         64
        .size:           8
        .value_kind:     by_value
      - .offset:         72
        .size:           4
        .value_kind:     by_value
      - .offset:         80
        .size:           8
        .value_kind:     by_value
    .group_segment_fixed_size: 17408
    .kernarg_segment_align: 8
    .kernarg_segment_size: 88
    .language:       OpenCL C
    .language_version:
      - 2
      - 0
    .max_flat_workgroup_size: 128
    .name:           _ZN9rocsolver6v33100L22larf_left_kernel_smallILi128E19rocblas_complex_numIfEiPS3_EEvT1_S5_T2_lS5_lPKT0_lS6_lS5_l
    .private_segment_fixed_size: 0
    .sgpr_count:     55
    .sgpr_spill_count: 0
    .symbol:         _ZN9rocsolver6v33100L22larf_left_kernel_smallILi128E19rocblas_complex_numIfEiPS3_EEvT1_S5_T2_lS5_lPKT0_lS6_lS5_l.kd
    .uniform_work_group_size: 1
    .uses_dynamic_stack: false
    .vgpr_count:     42
    .vgpr_spill_count: 0
    .wavefront_size: 64
  - .agpr_count:     0
    .args:
      - .offset:         0
        .size:           4
        .value_kind:     by_value
      - .offset:         4
        .size:           4
        .value_kind:     by_value
      - .address_space:  global
        .offset:         8
        .size:           8
        .value_kind:     global_buffer
      - .offset:         16
        .size:           8
        .value_kind:     by_value
      - .offset:         24
        .size:           4
        .value_kind:     by_value
      - .offset:         32
        .size:           8
        .value_kind:     by_value
      - .address_space:  global
        .offset:         40
        .size:           8
        .value_kind:     global_buffer
      - .offset:         48
        .size:           8
        .value_kind:     by_value
      - .address_space:  global
        .offset:         56
        .size:           8
        .value_kind:     global_buffer
      - .offset:         64
        .size:           8
        .value_kind:     by_value
      - .offset:         72
        .size:           4
        .value_kind:     by_value
      - .offset:         80
        .size:           8
        .value_kind:     by_value
    .group_segment_fixed_size: 18432
    .kernarg_segment_align: 8
    .kernarg_segment_size: 88
    .language:       OpenCL C
    .language_version:
      - 2
      - 0
    .max_flat_workgroup_size: 256
    .name:           _ZN9rocsolver6v33100L22larf_left_kernel_smallILi256E19rocblas_complex_numIfEiPS3_EEvT1_S5_T2_lS5_lPKT0_lS6_lS5_l
    .private_segment_fixed_size: 0
    .sgpr_count:     55
    .sgpr_spill_count: 0
    .symbol:         _ZN9rocsolver6v33100L22larf_left_kernel_smallILi256E19rocblas_complex_numIfEiPS3_EEvT1_S5_T2_lS5_lPKT0_lS6_lS5_l.kd
    .uniform_work_group_size: 1
    .uses_dynamic_stack: false
    .vgpr_count:     42
    .vgpr_spill_count: 0
    .wavefront_size: 64
  - .agpr_count:     0
    .args:
      - .offset:         0
        .size:           4
        .value_kind:     by_value
      - .offset:         4
        .size:           4
        .value_kind:     by_value
      - .address_space:  global
        .offset:         8
        .size:           8
        .value_kind:     global_buffer
      - .offset:         16
        .size:           8
        .value_kind:     by_value
      - .offset:         24
        .size:           4
        .value_kind:     by_value
      - .offset:         32
        .size:           8
        .value_kind:     by_value
      - .address_space:  global
        .offset:         40
        .size:           8
        .value_kind:     global_buffer
      - .offset:         48
        .size:           8
        .value_kind:     by_value
      - .address_space:  global
        .offset:         56
        .size:           8
        .value_kind:     global_buffer
      - .offset:         64
        .size:           8
        .value_kind:     by_value
      - .offset:         72
        .size:           4
        .value_kind:     by_value
      - .offset:         80
        .size:           8
        .value_kind:     by_value
    .group_segment_fixed_size: 20480
    .kernarg_segment_align: 8
    .kernarg_segment_size: 88
    .language:       OpenCL C
    .language_version:
      - 2
      - 0
    .max_flat_workgroup_size: 512
    .name:           _ZN9rocsolver6v33100L22larf_left_kernel_smallILi512E19rocblas_complex_numIfEiPS3_EEvT1_S5_T2_lS5_lPKT0_lS6_lS5_l
    .private_segment_fixed_size: 0
    .sgpr_count:     55
    .sgpr_spill_count: 0
    .symbol:         _ZN9rocsolver6v33100L22larf_left_kernel_smallILi512E19rocblas_complex_numIfEiPS3_EEvT1_S5_T2_lS5_lPKT0_lS6_lS5_l.kd
    .uniform_work_group_size: 1
    .uses_dynamic_stack: false
    .vgpr_count:     44
    .vgpr_spill_count: 0
    .wavefront_size: 64
  - .agpr_count:     0
    .args:
      - .offset:         0
        .size:           4
        .value_kind:     by_value
      - .offset:         4
        .size:           4
        .value_kind:     by_value
      - .address_space:  global
        .offset:         8
        .size:           8
        .value_kind:     global_buffer
      - .offset:         16
        .size:           8
        .value_kind:     by_value
      - .offset:         24
        .size:           4
        .value_kind:     by_value
      - .offset:         32
        .size:           8
        .value_kind:     by_value
      - .address_space:  global
        .offset:         40
        .size:           8
        .value_kind:     global_buffer
      - .offset:         48
        .size:           8
        .value_kind:     by_value
      - .address_space:  global
        .offset:         56
        .size:           8
        .value_kind:     global_buffer
      - .offset:         64
        .size:           8
        .value_kind:     by_value
      - .offset:         72
        .size:           4
        .value_kind:     by_value
      - .offset:         80
        .size:           8
        .value_kind:     by_value
    .group_segment_fixed_size: 24576
    .kernarg_segment_align: 8
    .kernarg_segment_size: 88
    .language:       OpenCL C
    .language_version:
      - 2
      - 0
    .max_flat_workgroup_size: 1024
    .name:           _ZN9rocsolver6v33100L22larf_left_kernel_smallILi1024E19rocblas_complex_numIfEiPS3_EEvT1_S5_T2_lS5_lPKT0_lS6_lS5_l
    .private_segment_fixed_size: 0
    .sgpr_count:     55
    .sgpr_spill_count: 0
    .symbol:         _ZN9rocsolver6v33100L22larf_left_kernel_smallILi1024E19rocblas_complex_numIfEiPS3_EEvT1_S5_T2_lS5_lPKT0_lS6_lS5_l.kd
    .uniform_work_group_size: 1
    .uses_dynamic_stack: false
    .vgpr_count:     48
    .vgpr_spill_count: 0
    .wavefront_size: 64
  - .agpr_count:     0
    .args:
      - .offset:         0
        .size:           4
        .value_kind:     by_value
      - .offset:         4
        .size:           4
        .value_kind:     by_value
      - .address_space:  global
        .offset:         8
        .size:           8
        .value_kind:     global_buffer
      - .offset:         16
        .size:           8
        .value_kind:     by_value
      - .offset:         24
        .size:           4
        .value_kind:     by_value
      - .offset:         32
        .size:           8
        .value_kind:     by_value
      - .address_space:  global
        .offset:         40
        .size:           8
        .value_kind:     global_buffer
      - .offset:         48
        .size:           8
        .value_kind:     by_value
      - .address_space:  global
        .offset:         56
        .size:           8
        .value_kind:     global_buffer
      - .offset:         64
        .size:           8
        .value_kind:     by_value
      - .offset:         72
        .size:           4
        .value_kind:     by_value
      - .offset:         80
        .size:           8
        .value_kind:     by_value
    .group_segment_fixed_size: 16392
    .kernarg_segment_align: 8
    .kernarg_segment_size: 88
    .language:       OpenCL C
    .language_version:
      - 2
      - 0
    .max_flat_workgroup_size: 64
    .name:           _ZN9rocsolver6v33100L23larf_right_kernel_smallILi64E19rocblas_complex_numIfEiPS3_EEvT1_S5_T2_lS5_lPKT0_lS6_lS5_l
    .private_segment_fixed_size: 0
    .sgpr_count:     34
    .sgpr_spill_count: 0
    .symbol:         _ZN9rocsolver6v33100L23larf_right_kernel_smallILi64E19rocblas_complex_numIfEiPS3_EEvT1_S5_T2_lS5_lPKT0_lS6_lS5_l.kd
    .uniform_work_group_size: 1
    .uses_dynamic_stack: false
    .vgpr_count:     26
    .vgpr_spill_count: 0
    .wavefront_size: 64
  - .agpr_count:     0
    .args:
      - .offset:         0
        .size:           4
        .value_kind:     by_value
      - .offset:         4
        .size:           4
        .value_kind:     by_value
      - .address_space:  global
        .offset:         8
        .size:           8
        .value_kind:     global_buffer
      - .offset:         16
        .size:           8
        .value_kind:     by_value
      - .offset:         24
        .size:           4
        .value_kind:     by_value
      - .offset:         32
        .size:           8
        .value_kind:     by_value
      - .address_space:  global
        .offset:         40
        .size:           8
        .value_kind:     global_buffer
      - .offset:         48
        .size:           8
        .value_kind:     by_value
      - .address_space:  global
        .offset:         56
        .size:           8
        .value_kind:     global_buffer
      - .offset:         64
        .size:           8
        .value_kind:     by_value
      - .offset:         72
        .size:           4
        .value_kind:     by_value
      - .offset:         80
        .size:           8
        .value_kind:     by_value
    .group_segment_fixed_size: 16400
    .kernarg_segment_align: 8
    .kernarg_segment_size: 88
    .language:       OpenCL C
    .language_version:
      - 2
      - 0
    .max_flat_workgroup_size: 128
    .name:           _ZN9rocsolver6v33100L23larf_right_kernel_smallILi128E19rocblas_complex_numIfEiPS3_EEvT1_S5_T2_lS5_lPKT0_lS6_lS5_l
    .private_segment_fixed_size: 0
    .sgpr_count:     34
    .sgpr_spill_count: 0
    .symbol:         _ZN9rocsolver6v33100L23larf_right_kernel_smallILi128E19rocblas_complex_numIfEiPS3_EEvT1_S5_T2_lS5_lPKT0_lS6_lS5_l.kd
    .uniform_work_group_size: 1
    .uses_dynamic_stack: false
    .vgpr_count:     26
    .vgpr_spill_count: 0
    .wavefront_size: 64
  - .agpr_count:     0
    .args:
      - .offset:         0
        .size:           4
        .value_kind:     by_value
      - .offset:         4
        .size:           4
        .value_kind:     by_value
      - .address_space:  global
        .offset:         8
        .size:           8
        .value_kind:     global_buffer
      - .offset:         16
        .size:           8
        .value_kind:     by_value
      - .offset:         24
        .size:           4
        .value_kind:     by_value
      - .offset:         32
        .size:           8
        .value_kind:     by_value
      - .address_space:  global
        .offset:         40
        .size:           8
        .value_kind:     global_buffer
      - .offset:         48
        .size:           8
        .value_kind:     by_value
      - .address_space:  global
        .offset:         56
        .size:           8
        .value_kind:     global_buffer
      - .offset:         64
        .size:           8
        .value_kind:     by_value
      - .offset:         72
        .size:           4
        .value_kind:     by_value
      - .offset:         80
        .size:           8
        .value_kind:     by_value
    .group_segment_fixed_size: 16416
    .kernarg_segment_align: 8
    .kernarg_segment_size: 88
    .language:       OpenCL C
    .language_version:
      - 2
      - 0
    .max_flat_workgroup_size: 256
    .name:           _ZN9rocsolver6v33100L23larf_right_kernel_smallILi256E19rocblas_complex_numIfEiPS3_EEvT1_S5_T2_lS5_lPKT0_lS6_lS5_l
    .private_segment_fixed_size: 0
    .sgpr_count:     34
    .sgpr_spill_count: 0
    .symbol:         _ZN9rocsolver6v33100L23larf_right_kernel_smallILi256E19rocblas_complex_numIfEiPS3_EEvT1_S5_T2_lS5_lPKT0_lS6_lS5_l.kd
    .uniform_work_group_size: 1
    .uses_dynamic_stack: false
    .vgpr_count:     28
    .vgpr_spill_count: 0
    .wavefront_size: 64
  - .agpr_count:     0
    .args:
      - .offset:         0
        .size:           4
        .value_kind:     by_value
      - .offset:         4
        .size:           4
        .value_kind:     by_value
      - .address_space:  global
        .offset:         8
        .size:           8
        .value_kind:     global_buffer
      - .offset:         16
        .size:           8
        .value_kind:     by_value
      - .offset:         24
        .size:           4
        .value_kind:     by_value
      - .offset:         32
        .size:           8
        .value_kind:     by_value
      - .address_space:  global
        .offset:         40
        .size:           8
        .value_kind:     global_buffer
      - .offset:         48
        .size:           8
        .value_kind:     by_value
      - .address_space:  global
        .offset:         56
        .size:           8
        .value_kind:     global_buffer
      - .offset:         64
        .size:           8
        .value_kind:     by_value
      - .offset:         72
        .size:           4
        .value_kind:     by_value
      - .offset:         80
        .size:           8
        .value_kind:     by_value
    .group_segment_fixed_size: 16448
    .kernarg_segment_align: 8
    .kernarg_segment_size: 88
    .language:       OpenCL C
    .language_version:
      - 2
      - 0
    .max_flat_workgroup_size: 512
    .name:           _ZN9rocsolver6v33100L23larf_right_kernel_smallILi512E19rocblas_complex_numIfEiPS3_EEvT1_S5_T2_lS5_lPKT0_lS6_lS5_l
    .private_segment_fixed_size: 0
    .sgpr_count:     34
    .sgpr_spill_count: 0
    .symbol:         _ZN9rocsolver6v33100L23larf_right_kernel_smallILi512E19rocblas_complex_numIfEiPS3_EEvT1_S5_T2_lS5_lPKT0_lS6_lS5_l.kd
    .uniform_work_group_size: 1
    .uses_dynamic_stack: false
    .vgpr_count:     30
    .vgpr_spill_count: 0
    .wavefront_size: 64
  - .agpr_count:     0
    .args:
      - .offset:         0
        .size:           4
        .value_kind:     by_value
      - .offset:         4
        .size:           4
        .value_kind:     by_value
      - .address_space:  global
        .offset:         8
        .size:           8
        .value_kind:     global_buffer
      - .offset:         16
        .size:           8
        .value_kind:     by_value
      - .offset:         24
        .size:           4
        .value_kind:     by_value
      - .offset:         32
        .size:           8
        .value_kind:     by_value
      - .address_space:  global
        .offset:         40
        .size:           8
        .value_kind:     global_buffer
      - .offset:         48
        .size:           8
        .value_kind:     by_value
      - .address_space:  global
        .offset:         56
        .size:           8
        .value_kind:     global_buffer
      - .offset:         64
        .size:           8
        .value_kind:     by_value
      - .offset:         72
        .size:           4
        .value_kind:     by_value
      - .offset:         80
        .size:           8
        .value_kind:     by_value
    .group_segment_fixed_size: 16512
    .kernarg_segment_align: 8
    .kernarg_segment_size: 88
    .language:       OpenCL C
    .language_version:
      - 2
      - 0
    .max_flat_workgroup_size: 1024
    .name:           _ZN9rocsolver6v33100L23larf_right_kernel_smallILi1024E19rocblas_complex_numIfEiPS3_EEvT1_S5_T2_lS5_lPKT0_lS6_lS5_l
    .private_segment_fixed_size: 0
    .sgpr_count:     34
    .sgpr_spill_count: 0
    .symbol:         _ZN9rocsolver6v33100L23larf_right_kernel_smallILi1024E19rocblas_complex_numIfEiPS3_EEvT1_S5_T2_lS5_lPKT0_lS6_lS5_l.kd
    .uniform_work_group_size: 1
    .uses_dynamic_stack: false
    .vgpr_count:     36
    .vgpr_spill_count: 0
    .wavefront_size: 64
  - .agpr_count:     0
    .args:
      - .offset:         0
        .size:           4
        .value_kind:     by_value
      - .offset:         4
        .size:           4
        .value_kind:     by_value
      - .address_space:  global
        .offset:         8
        .size:           8
        .value_kind:     global_buffer
      - .offset:         16
        .size:           8
        .value_kind:     by_value
      - .offset:         24
        .size:           4
        .value_kind:     by_value
      - .offset:         32
        .size:           8
        .value_kind:     by_value
      - .address_space:  global
        .offset:         40
        .size:           8
        .value_kind:     global_buffer
      - .offset:         48
        .size:           8
        .value_kind:     by_value
      - .address_space:  global
        .offset:         56
        .size:           8
        .value_kind:     global_buffer
      - .offset:         64
        .size:           8
        .value_kind:     by_value
      - .offset:         72
        .size:           4
        .value_kind:     by_value
      - .offset:         80
        .size:           8
        .value_kind:     by_value
    .group_segment_fixed_size: 16896
    .kernarg_segment_align: 8
    .kernarg_segment_size: 88
    .language:       OpenCL C
    .language_version:
      - 2
      - 0
    .max_flat_workgroup_size: 64
    .name:           _ZN9rocsolver6v33100L22larf_left_kernel_smallILi64E19rocblas_complex_numIfEiPKPS3_EEvT1_S7_T2_lS7_lPKT0_lS8_lS7_l
    .private_segment_fixed_size: 0
    .sgpr_count:     51
    .sgpr_spill_count: 0
    .symbol:         _ZN9rocsolver6v33100L22larf_left_kernel_smallILi64E19rocblas_complex_numIfEiPKPS3_EEvT1_S7_T2_lS7_lPKT0_lS8_lS7_l.kd
    .uniform_work_group_size: 1
    .uses_dynamic_stack: false
    .vgpr_count:     42
    .vgpr_spill_count: 0
    .wavefront_size: 64
  - .agpr_count:     0
    .args:
      - .offset:         0
        .size:           4
        .value_kind:     by_value
      - .offset:         4
        .size:           4
        .value_kind:     by_value
      - .address_space:  global
        .offset:         8
        .size:           8
        .value_kind:     global_buffer
      - .offset:         16
        .size:           8
        .value_kind:     by_value
      - .offset:         24
        .size:           4
        .value_kind:     by_value
      - .offset:         32
        .size:           8
        .value_kind:     by_value
      - .address_space:  global
        .offset:         40
        .size:           8
        .value_kind:     global_buffer
      - .offset:         48
        .size:           8
        .value_kind:     by_value
      - .address_space:  global
        .offset:         56
        .size:           8
        .value_kind:     global_buffer
      - .offset:         64
        .size:           8
        .value_kind:     by_value
      - .offset:         72
        .size:           4
        .value_kind:     by_value
      - .offset:         80
        .size:           8
        .value_kind:     by_value
    .group_segment_fixed_size: 17408
    .kernarg_segment_align: 8
    .kernarg_segment_size: 88
    .language:       OpenCL C
    .language_version:
      - 2
      - 0
    .max_flat_workgroup_size: 128
    .name:           _ZN9rocsolver6v33100L22larf_left_kernel_smallILi128E19rocblas_complex_numIfEiPKPS3_EEvT1_S7_T2_lS7_lPKT0_lS8_lS7_l
    .private_segment_fixed_size: 0
    .sgpr_count:     53
    .sgpr_spill_count: 0
    .symbol:         _ZN9rocsolver6v33100L22larf_left_kernel_smallILi128E19rocblas_complex_numIfEiPKPS3_EEvT1_S7_T2_lS7_lPKT0_lS8_lS7_l.kd
    .uniform_work_group_size: 1
    .uses_dynamic_stack: false
    .vgpr_count:     42
    .vgpr_spill_count: 0
    .wavefront_size: 64
  - .agpr_count:     0
    .args:
      - .offset:         0
        .size:           4
        .value_kind:     by_value
      - .offset:         4
        .size:           4
        .value_kind:     by_value
      - .address_space:  global
        .offset:         8
        .size:           8
        .value_kind:     global_buffer
      - .offset:         16
        .size:           8
        .value_kind:     by_value
      - .offset:         24
        .size:           4
        .value_kind:     by_value
      - .offset:         32
        .size:           8
        .value_kind:     by_value
      - .address_space:  global
        .offset:         40
        .size:           8
        .value_kind:     global_buffer
      - .offset:         48
        .size:           8
        .value_kind:     by_value
      - .address_space:  global
        .offset:         56
        .size:           8
        .value_kind:     global_buffer
      - .offset:         64
        .size:           8
        .value_kind:     by_value
      - .offset:         72
        .size:           4
        .value_kind:     by_value
      - .offset:         80
        .size:           8
        .value_kind:     by_value
    .group_segment_fixed_size: 18432
    .kernarg_segment_align: 8
    .kernarg_segment_size: 88
    .language:       OpenCL C
    .language_version:
      - 2
      - 0
    .max_flat_workgroup_size: 256
    .name:           _ZN9rocsolver6v33100L22larf_left_kernel_smallILi256E19rocblas_complex_numIfEiPKPS3_EEvT1_S7_T2_lS7_lPKT0_lS8_lS7_l
    .private_segment_fixed_size: 0
    .sgpr_count:     53
    .sgpr_spill_count: 0
    .symbol:         _ZN9rocsolver6v33100L22larf_left_kernel_smallILi256E19rocblas_complex_numIfEiPKPS3_EEvT1_S7_T2_lS7_lPKT0_lS8_lS7_l.kd
    .uniform_work_group_size: 1
    .uses_dynamic_stack: false
    .vgpr_count:     42
    .vgpr_spill_count: 0
    .wavefront_size: 64
  - .agpr_count:     0
    .args:
      - .offset:         0
        .size:           4
        .value_kind:     by_value
      - .offset:         4
        .size:           4
        .value_kind:     by_value
      - .address_space:  global
        .offset:         8
        .size:           8
        .value_kind:     global_buffer
      - .offset:         16
        .size:           8
        .value_kind:     by_value
      - .offset:         24
        .size:           4
        .value_kind:     by_value
      - .offset:         32
        .size:           8
        .value_kind:     by_value
      - .address_space:  global
        .offset:         40
        .size:           8
        .value_kind:     global_buffer
      - .offset:         48
        .size:           8
        .value_kind:     by_value
      - .address_space:  global
        .offset:         56
        .size:           8
        .value_kind:     global_buffer
      - .offset:         64
        .size:           8
        .value_kind:     by_value
      - .offset:         72
        .size:           4
        .value_kind:     by_value
      - .offset:         80
        .size:           8
        .value_kind:     by_value
    .group_segment_fixed_size: 20480
    .kernarg_segment_align: 8
    .kernarg_segment_size: 88
    .language:       OpenCL C
    .language_version:
      - 2
      - 0
    .max_flat_workgroup_size: 512
    .name:           _ZN9rocsolver6v33100L22larf_left_kernel_smallILi512E19rocblas_complex_numIfEiPKPS3_EEvT1_S7_T2_lS7_lPKT0_lS8_lS7_l
    .private_segment_fixed_size: 0
    .sgpr_count:     53
    .sgpr_spill_count: 0
    .symbol:         _ZN9rocsolver6v33100L22larf_left_kernel_smallILi512E19rocblas_complex_numIfEiPKPS3_EEvT1_S7_T2_lS7_lPKT0_lS8_lS7_l.kd
    .uniform_work_group_size: 1
    .uses_dynamic_stack: false
    .vgpr_count:     44
    .vgpr_spill_count: 0
    .wavefront_size: 64
  - .agpr_count:     0
    .args:
      - .offset:         0
        .size:           4
        .value_kind:     by_value
      - .offset:         4
        .size:           4
        .value_kind:     by_value
      - .address_space:  global
        .offset:         8
        .size:           8
        .value_kind:     global_buffer
      - .offset:         16
        .size:           8
        .value_kind:     by_value
      - .offset:         24
        .size:           4
        .value_kind:     by_value
      - .offset:         32
        .size:           8
        .value_kind:     by_value
      - .address_space:  global
        .offset:         40
        .size:           8
        .value_kind:     global_buffer
      - .offset:         48
        .size:           8
        .value_kind:     by_value
      - .address_space:  global
        .offset:         56
        .size:           8
        .value_kind:     global_buffer
      - .offset:         64
        .size:           8
        .value_kind:     by_value
      - .offset:         72
        .size:           4
        .value_kind:     by_value
      - .offset:         80
        .size:           8
        .value_kind:     by_value
    .group_segment_fixed_size: 24576
    .kernarg_segment_align: 8
    .kernarg_segment_size: 88
    .language:       OpenCL C
    .language_version:
      - 2
      - 0
    .max_flat_workgroup_size: 1024
    .name:           _ZN9rocsolver6v33100L22larf_left_kernel_smallILi1024E19rocblas_complex_numIfEiPKPS3_EEvT1_S7_T2_lS7_lPKT0_lS8_lS7_l
    .private_segment_fixed_size: 0
    .sgpr_count:     53
    .sgpr_spill_count: 0
    .symbol:         _ZN9rocsolver6v33100L22larf_left_kernel_smallILi1024E19rocblas_complex_numIfEiPKPS3_EEvT1_S7_T2_lS7_lPKT0_lS8_lS7_l.kd
    .uniform_work_group_size: 1
    .uses_dynamic_stack: false
    .vgpr_count:     48
    .vgpr_spill_count: 0
    .wavefront_size: 64
  - .agpr_count:     0
    .args:
      - .offset:         0
        .size:           4
        .value_kind:     by_value
      - .offset:         4
        .size:           4
        .value_kind:     by_value
      - .address_space:  global
        .offset:         8
        .size:           8
        .value_kind:     global_buffer
      - .offset:         16
        .size:           8
        .value_kind:     by_value
      - .offset:         24
        .size:           4
        .value_kind:     by_value
      - .offset:         32
        .size:           8
        .value_kind:     by_value
      - .address_space:  global
        .offset:         40
        .size:           8
        .value_kind:     global_buffer
      - .offset:         48
        .size:           8
        .value_kind:     by_value
      - .address_space:  global
        .offset:         56
        .size:           8
        .value_kind:     global_buffer
      - .offset:         64
        .size:           8
        .value_kind:     by_value
      - .offset:         72
        .size:           4
        .value_kind:     by_value
      - .offset:         80
        .size:           8
        .value_kind:     by_value
    .group_segment_fixed_size: 16392
    .kernarg_segment_align: 8
    .kernarg_segment_size: 88
    .language:       OpenCL C
    .language_version:
      - 2
      - 0
    .max_flat_workgroup_size: 64
    .name:           _ZN9rocsolver6v33100L23larf_right_kernel_smallILi64E19rocblas_complex_numIfEiPKPS3_EEvT1_S7_T2_lS7_lPKT0_lS8_lS7_l
    .private_segment_fixed_size: 0
    .sgpr_count:     34
    .sgpr_spill_count: 0
    .symbol:         _ZN9rocsolver6v33100L23larf_right_kernel_smallILi64E19rocblas_complex_numIfEiPKPS3_EEvT1_S7_T2_lS7_lPKT0_lS8_lS7_l.kd
    .uniform_work_group_size: 1
    .uses_dynamic_stack: false
    .vgpr_count:     26
    .vgpr_spill_count: 0
    .wavefront_size: 64
  - .agpr_count:     0
    .args:
      - .offset:         0
        .size:           4
        .value_kind:     by_value
      - .offset:         4
        .size:           4
        .value_kind:     by_value
      - .address_space:  global
        .offset:         8
        .size:           8
        .value_kind:     global_buffer
      - .offset:         16
        .size:           8
        .value_kind:     by_value
      - .offset:         24
        .size:           4
        .value_kind:     by_value
      - .offset:         32
        .size:           8
        .value_kind:     by_value
      - .address_space:  global
        .offset:         40
        .size:           8
        .value_kind:     global_buffer
      - .offset:         48
        .size:           8
        .value_kind:     by_value
      - .address_space:  global
        .offset:         56
        .size:           8
        .value_kind:     global_buffer
      - .offset:         64
        .size:           8
        .value_kind:     by_value
      - .offset:         72
        .size:           4
        .value_kind:     by_value
      - .offset:         80
        .size:           8
        .value_kind:     by_value
    .group_segment_fixed_size: 16400
    .kernarg_segment_align: 8
    .kernarg_segment_size: 88
    .language:       OpenCL C
    .language_version:
      - 2
      - 0
    .max_flat_workgroup_size: 128
    .name:           _ZN9rocsolver6v33100L23larf_right_kernel_smallILi128E19rocblas_complex_numIfEiPKPS3_EEvT1_S7_T2_lS7_lPKT0_lS8_lS7_l
    .private_segment_fixed_size: 0
    .sgpr_count:     34
    .sgpr_spill_count: 0
    .symbol:         _ZN9rocsolver6v33100L23larf_right_kernel_smallILi128E19rocblas_complex_numIfEiPKPS3_EEvT1_S7_T2_lS7_lPKT0_lS8_lS7_l.kd
    .uniform_work_group_size: 1
    .uses_dynamic_stack: false
    .vgpr_count:     26
    .vgpr_spill_count: 0
    .wavefront_size: 64
  - .agpr_count:     0
    .args:
      - .offset:         0
        .size:           4
        .value_kind:     by_value
      - .offset:         4
        .size:           4
        .value_kind:     by_value
      - .address_space:  global
        .offset:         8
        .size:           8
        .value_kind:     global_buffer
      - .offset:         16
        .size:           8
        .value_kind:     by_value
      - .offset:         24
        .size:           4
        .value_kind:     by_value
      - .offset:         32
        .size:           8
        .value_kind:     by_value
      - .address_space:  global
        .offset:         40
        .size:           8
        .value_kind:     global_buffer
      - .offset:         48
        .size:           8
        .value_kind:     by_value
      - .address_space:  global
        .offset:         56
        .size:           8
        .value_kind:     global_buffer
      - .offset:         64
        .size:           8
        .value_kind:     by_value
      - .offset:         72
        .size:           4
        .value_kind:     by_value
      - .offset:         80
        .size:           8
        .value_kind:     by_value
    .group_segment_fixed_size: 16416
    .kernarg_segment_align: 8
    .kernarg_segment_size: 88
    .language:       OpenCL C
    .language_version:
      - 2
      - 0
    .max_flat_workgroup_size: 256
    .name:           _ZN9rocsolver6v33100L23larf_right_kernel_smallILi256E19rocblas_complex_numIfEiPKPS3_EEvT1_S7_T2_lS7_lPKT0_lS8_lS7_l
    .private_segment_fixed_size: 0
    .sgpr_count:     34
    .sgpr_spill_count: 0
    .symbol:         _ZN9rocsolver6v33100L23larf_right_kernel_smallILi256E19rocblas_complex_numIfEiPKPS3_EEvT1_S7_T2_lS7_lPKT0_lS8_lS7_l.kd
    .uniform_work_group_size: 1
    .uses_dynamic_stack: false
    .vgpr_count:     28
    .vgpr_spill_count: 0
    .wavefront_size: 64
  - .agpr_count:     0
    .args:
      - .offset:         0
        .size:           4
        .value_kind:     by_value
      - .offset:         4
        .size:           4
        .value_kind:     by_value
      - .address_space:  global
        .offset:         8
        .size:           8
        .value_kind:     global_buffer
      - .offset:         16
        .size:           8
        .value_kind:     by_value
      - .offset:         24
        .size:           4
        .value_kind:     by_value
      - .offset:         32
        .size:           8
        .value_kind:     by_value
      - .address_space:  global
        .offset:         40
        .size:           8
        .value_kind:     global_buffer
      - .offset:         48
        .size:           8
        .value_kind:     by_value
      - .address_space:  global
        .offset:         56
        .size:           8
        .value_kind:     global_buffer
      - .offset:         64
        .size:           8
        .value_kind:     by_value
      - .offset:         72
        .size:           4
        .value_kind:     by_value
      - .offset:         80
        .size:           8
        .value_kind:     by_value
    .group_segment_fixed_size: 16448
    .kernarg_segment_align: 8
    .kernarg_segment_size: 88
    .language:       OpenCL C
    .language_version:
      - 2
      - 0
    .max_flat_workgroup_size: 512
    .name:           _ZN9rocsolver6v33100L23larf_right_kernel_smallILi512E19rocblas_complex_numIfEiPKPS3_EEvT1_S7_T2_lS7_lPKT0_lS8_lS7_l
    .private_segment_fixed_size: 0
    .sgpr_count:     34
    .sgpr_spill_count: 0
    .symbol:         _ZN9rocsolver6v33100L23larf_right_kernel_smallILi512E19rocblas_complex_numIfEiPKPS3_EEvT1_S7_T2_lS7_lPKT0_lS8_lS7_l.kd
    .uniform_work_group_size: 1
    .uses_dynamic_stack: false
    .vgpr_count:     30
    .vgpr_spill_count: 0
    .wavefront_size: 64
  - .agpr_count:     0
    .args:
      - .offset:         0
        .size:           4
        .value_kind:     by_value
      - .offset:         4
        .size:           4
        .value_kind:     by_value
      - .address_space:  global
        .offset:         8
        .size:           8
        .value_kind:     global_buffer
      - .offset:         16
        .size:           8
        .value_kind:     by_value
      - .offset:         24
        .size:           4
        .value_kind:     by_value
      - .offset:         32
        .size:           8
        .value_kind:     by_value
      - .address_space:  global
        .offset:         40
        .size:           8
        .value_kind:     global_buffer
      - .offset:         48
        .size:           8
        .value_kind:     by_value
      - .address_space:  global
        .offset:         56
        .size:           8
        .value_kind:     global_buffer
      - .offset:         64
        .size:           8
        .value_kind:     by_value
      - .offset:         72
        .size:           4
        .value_kind:     by_value
      - .offset:         80
        .size:           8
        .value_kind:     by_value
    .group_segment_fixed_size: 16512
    .kernarg_segment_align: 8
    .kernarg_segment_size: 88
    .language:       OpenCL C
    .language_version:
      - 2
      - 0
    .max_flat_workgroup_size: 1024
    .name:           _ZN9rocsolver6v33100L23larf_right_kernel_smallILi1024E19rocblas_complex_numIfEiPKPS3_EEvT1_S7_T2_lS7_lPKT0_lS8_lS7_l
    .private_segment_fixed_size: 0
    .sgpr_count:     34
    .sgpr_spill_count: 0
    .symbol:         _ZN9rocsolver6v33100L23larf_right_kernel_smallILi1024E19rocblas_complex_numIfEiPKPS3_EEvT1_S7_T2_lS7_lPKT0_lS8_lS7_l.kd
    .uniform_work_group_size: 1
    .uses_dynamic_stack: false
    .vgpr_count:     36
    .vgpr_spill_count: 0
    .wavefront_size: 64
  - .agpr_count:     0
    .args:
      - .offset:         0
        .size:           8
        .value_kind:     by_value
      - .offset:         8
        .size:           8
        .value_kind:     by_value
      - .address_space:  global
        .offset:         16
        .size:           8
        .value_kind:     global_buffer
      - .offset:         24
        .size:           8
        .value_kind:     by_value
      - .offset:         32
        .size:           8
        .value_kind:     by_value
      - .offset:         40
        .size:           8
        .value_kind:     by_value
      - .address_space:  global
        .offset:         48
        .size:           8
        .value_kind:     global_buffer
      - .offset:         56
        .size:           8
        .value_kind:     by_value
      - .address_space:  global
        .offset:         64
        .size:           8
        .value_kind:     global_buffer
      - .offset:         72
        .size:           8
        .value_kind:     by_value
      - .offset:         80
        .size:           8
        .value_kind:     by_value
      - .offset:         88
        .size:           8
        .value_kind:     by_value
    .group_segment_fixed_size: 16896
    .kernarg_segment_align: 8
    .kernarg_segment_size: 96
    .language:       OpenCL C
    .language_version:
      - 2
      - 0
    .max_flat_workgroup_size: 64
    .name:           _ZN9rocsolver6v33100L22larf_left_kernel_smallILi64E19rocblas_complex_numIfElPS3_EEvT1_S5_T2_lS5_lPKT0_lS6_lS5_l
    .private_segment_fixed_size: 0
    .sgpr_count:     52
    .sgpr_spill_count: 0
    .symbol:         _ZN9rocsolver6v33100L22larf_left_kernel_smallILi64E19rocblas_complex_numIfElPS3_EEvT1_S5_T2_lS5_lPKT0_lS6_lS5_l.kd
    .uniform_work_group_size: 1
    .uses_dynamic_stack: false
    .vgpr_count:     54
    .vgpr_spill_count: 0
    .wavefront_size: 64
  - .agpr_count:     0
    .args:
      - .offset:         0
        .size:           8
        .value_kind:     by_value
      - .offset:         8
        .size:           8
        .value_kind:     by_value
      - .address_space:  global
        .offset:         16
        .size:           8
        .value_kind:     global_buffer
      - .offset:         24
        .size:           8
        .value_kind:     by_value
      - .offset:         32
        .size:           8
        .value_kind:     by_value
      - .offset:         40
        .size:           8
        .value_kind:     by_value
      - .address_space:  global
        .offset:         48
        .size:           8
        .value_kind:     global_buffer
      - .offset:         56
        .size:           8
        .value_kind:     by_value
      - .address_space:  global
        .offset:         64
        .size:           8
        .value_kind:     global_buffer
      - .offset:         72
        .size:           8
        .value_kind:     by_value
      - .offset:         80
        .size:           8
        .value_kind:     by_value
      - .offset:         88
        .size:           8
        .value_kind:     by_value
    .group_segment_fixed_size: 17408
    .kernarg_segment_align: 8
    .kernarg_segment_size: 96
    .language:       OpenCL C
    .language_version:
      - 2
      - 0
    .max_flat_workgroup_size: 128
    .name:           _ZN9rocsolver6v33100L22larf_left_kernel_smallILi128E19rocblas_complex_numIfElPS3_EEvT1_S5_T2_lS5_lPKT0_lS6_lS5_l
    .private_segment_fixed_size: 0
    .sgpr_count:     56
    .sgpr_spill_count: 0
    .symbol:         _ZN9rocsolver6v33100L22larf_left_kernel_smallILi128E19rocblas_complex_numIfElPS3_EEvT1_S5_T2_lS5_lPKT0_lS6_lS5_l.kd
    .uniform_work_group_size: 1
    .uses_dynamic_stack: false
    .vgpr_count:     54
    .vgpr_spill_count: 0
    .wavefront_size: 64
  - .agpr_count:     0
    .args:
      - .offset:         0
        .size:           8
        .value_kind:     by_value
      - .offset:         8
        .size:           8
        .value_kind:     by_value
      - .address_space:  global
        .offset:         16
        .size:           8
        .value_kind:     global_buffer
      - .offset:         24
        .size:           8
        .value_kind:     by_value
      - .offset:         32
        .size:           8
        .value_kind:     by_value
      - .offset:         40
        .size:           8
        .value_kind:     by_value
      - .address_space:  global
        .offset:         48
        .size:           8
        .value_kind:     global_buffer
      - .offset:         56
        .size:           8
        .value_kind:     by_value
      - .address_space:  global
        .offset:         64
        .size:           8
        .value_kind:     global_buffer
      - .offset:         72
        .size:           8
        .value_kind:     by_value
      - .offset:         80
        .size:           8
        .value_kind:     by_value
      - .offset:         88
        .size:           8
        .value_kind:     by_value
    .group_segment_fixed_size: 18432
    .kernarg_segment_align: 8
    .kernarg_segment_size: 96
    .language:       OpenCL C
    .language_version:
      - 2
      - 0
    .max_flat_workgroup_size: 256
    .name:           _ZN9rocsolver6v33100L22larf_left_kernel_smallILi256E19rocblas_complex_numIfElPS3_EEvT1_S5_T2_lS5_lPKT0_lS6_lS5_l
    .private_segment_fixed_size: 0
    .sgpr_count:     56
    .sgpr_spill_count: 0
    .symbol:         _ZN9rocsolver6v33100L22larf_left_kernel_smallILi256E19rocblas_complex_numIfElPS3_EEvT1_S5_T2_lS5_lPKT0_lS6_lS5_l.kd
    .uniform_work_group_size: 1
    .uses_dynamic_stack: false
    .vgpr_count:     54
    .vgpr_spill_count: 0
    .wavefront_size: 64
  - .agpr_count:     0
    .args:
      - .offset:         0
        .size:           8
        .value_kind:     by_value
      - .offset:         8
        .size:           8
        .value_kind:     by_value
      - .address_space:  global
        .offset:         16
        .size:           8
        .value_kind:     global_buffer
      - .offset:         24
        .size:           8
        .value_kind:     by_value
      - .offset:         32
        .size:           8
        .value_kind:     by_value
      - .offset:         40
        .size:           8
        .value_kind:     by_value
      - .address_space:  global
        .offset:         48
        .size:           8
        .value_kind:     global_buffer
      - .offset:         56
        .size:           8
        .value_kind:     by_value
      - .address_space:  global
        .offset:         64
        .size:           8
        .value_kind:     global_buffer
      - .offset:         72
        .size:           8
        .value_kind:     by_value
      - .offset:         80
        .size:           8
        .value_kind:     by_value
      - .offset:         88
        .size:           8
        .value_kind:     by_value
    .group_segment_fixed_size: 20480
    .kernarg_segment_align: 8
    .kernarg_segment_size: 96
    .language:       OpenCL C
    .language_version:
      - 2
      - 0
    .max_flat_workgroup_size: 512
    .name:           _ZN9rocsolver6v33100L22larf_left_kernel_smallILi512E19rocblas_complex_numIfElPS3_EEvT1_S5_T2_lS5_lPKT0_lS6_lS5_l
    .private_segment_fixed_size: 0
    .sgpr_count:     56
    .sgpr_spill_count: 0
    .symbol:         _ZN9rocsolver6v33100L22larf_left_kernel_smallILi512E19rocblas_complex_numIfElPS3_EEvT1_S5_T2_lS5_lPKT0_lS6_lS5_l.kd
    .uniform_work_group_size: 1
    .uses_dynamic_stack: false
    .vgpr_count:     58
    .vgpr_spill_count: 0
    .wavefront_size: 64
  - .agpr_count:     0
    .args:
      - .offset:         0
        .size:           8
        .value_kind:     by_value
      - .offset:         8
        .size:           8
        .value_kind:     by_value
      - .address_space:  global
        .offset:         16
        .size:           8
        .value_kind:     global_buffer
      - .offset:         24
        .size:           8
        .value_kind:     by_value
      - .offset:         32
        .size:           8
        .value_kind:     by_value
      - .offset:         40
        .size:           8
        .value_kind:     by_value
      - .address_space:  global
        .offset:         48
        .size:           8
        .value_kind:     global_buffer
      - .offset:         56
        .size:           8
        .value_kind:     by_value
      - .address_space:  global
        .offset:         64
        .size:           8
        .value_kind:     global_buffer
      - .offset:         72
        .size:           8
        .value_kind:     by_value
      - .offset:         80
        .size:           8
        .value_kind:     by_value
      - .offset:         88
        .size:           8
        .value_kind:     by_value
    .group_segment_fixed_size: 24576
    .kernarg_segment_align: 8
    .kernarg_segment_size: 96
    .language:       OpenCL C
    .language_version:
      - 2
      - 0
    .max_flat_workgroup_size: 1024
    .name:           _ZN9rocsolver6v33100L22larf_left_kernel_smallILi1024E19rocblas_complex_numIfElPS3_EEvT1_S5_T2_lS5_lPKT0_lS6_lS5_l
    .private_segment_fixed_size: 0
    .sgpr_count:     58
    .sgpr_spill_count: 0
    .symbol:         _ZN9rocsolver6v33100L22larf_left_kernel_smallILi1024E19rocblas_complex_numIfElPS3_EEvT1_S5_T2_lS5_lPKT0_lS6_lS5_l.kd
    .uniform_work_group_size: 1
    .uses_dynamic_stack: false
    .vgpr_count:     56
    .vgpr_spill_count: 0
    .wavefront_size: 64
  - .agpr_count:     0
    .args:
      - .offset:         0
        .size:           8
        .value_kind:     by_value
      - .offset:         8
        .size:           8
        .value_kind:     by_value
      - .address_space:  global
        .offset:         16
        .size:           8
        .value_kind:     global_buffer
      - .offset:         24
        .size:           8
        .value_kind:     by_value
      - .offset:         32
        .size:           8
        .value_kind:     by_value
      - .offset:         40
        .size:           8
        .value_kind:     by_value
      - .address_space:  global
        .offset:         48
        .size:           8
        .value_kind:     global_buffer
      - .offset:         56
        .size:           8
        .value_kind:     by_value
      - .address_space:  global
        .offset:         64
        .size:           8
        .value_kind:     global_buffer
      - .offset:         72
        .size:           8
        .value_kind:     by_value
      - .offset:         80
        .size:           8
        .value_kind:     by_value
      - .offset:         88
        .size:           8
        .value_kind:     by_value
    .group_segment_fixed_size: 16392
    .kernarg_segment_align: 8
    .kernarg_segment_size: 96
    .language:       OpenCL C
    .language_version:
      - 2
      - 0
    .max_flat_workgroup_size: 64
    .name:           _ZN9rocsolver6v33100L23larf_right_kernel_smallILi64E19rocblas_complex_numIfElPS3_EEvT1_S5_T2_lS5_lPKT0_lS6_lS5_l
    .private_segment_fixed_size: 0
    .sgpr_count:     38
    .sgpr_spill_count: 0
    .symbol:         _ZN9rocsolver6v33100L23larf_right_kernel_smallILi64E19rocblas_complex_numIfElPS3_EEvT1_S5_T2_lS5_lPKT0_lS6_lS5_l.kd
    .uniform_work_group_size: 1
    .uses_dynamic_stack: false
    .vgpr_count:     30
    .vgpr_spill_count: 0
    .wavefront_size: 64
  - .agpr_count:     0
    .args:
      - .offset:         0
        .size:           8
        .value_kind:     by_value
      - .offset:         8
        .size:           8
        .value_kind:     by_value
      - .address_space:  global
        .offset:         16
        .size:           8
        .value_kind:     global_buffer
      - .offset:         24
        .size:           8
        .value_kind:     by_value
      - .offset:         32
        .size:           8
        .value_kind:     by_value
      - .offset:         40
        .size:           8
        .value_kind:     by_value
      - .address_space:  global
        .offset:         48
        .size:           8
        .value_kind:     global_buffer
      - .offset:         56
        .size:           8
        .value_kind:     by_value
      - .address_space:  global
        .offset:         64
        .size:           8
        .value_kind:     global_buffer
      - .offset:         72
        .size:           8
        .value_kind:     by_value
      - .offset:         80
        .size:           8
        .value_kind:     by_value
      - .offset:         88
        .size:           8
        .value_kind:     by_value
    .group_segment_fixed_size: 16400
    .kernarg_segment_align: 8
    .kernarg_segment_size: 96
    .language:       OpenCL C
    .language_version:
      - 2
      - 0
    .max_flat_workgroup_size: 128
    .name:           _ZN9rocsolver6v33100L23larf_right_kernel_smallILi128E19rocblas_complex_numIfElPS3_EEvT1_S5_T2_lS5_lPKT0_lS6_lS5_l
    .private_segment_fixed_size: 0
    .sgpr_count:     42
    .sgpr_spill_count: 0
    .symbol:         _ZN9rocsolver6v33100L23larf_right_kernel_smallILi128E19rocblas_complex_numIfElPS3_EEvT1_S5_T2_lS5_lPKT0_lS6_lS5_l.kd
    .uniform_work_group_size: 1
    .uses_dynamic_stack: false
    .vgpr_count:     30
    .vgpr_spill_count: 0
    .wavefront_size: 64
  - .agpr_count:     0
    .args:
      - .offset:         0
        .size:           8
        .value_kind:     by_value
      - .offset:         8
        .size:           8
        .value_kind:     by_value
      - .address_space:  global
        .offset:         16
        .size:           8
        .value_kind:     global_buffer
      - .offset:         24
        .size:           8
        .value_kind:     by_value
      - .offset:         32
        .size:           8
        .value_kind:     by_value
      - .offset:         40
        .size:           8
        .value_kind:     by_value
      - .address_space:  global
        .offset:         48
        .size:           8
        .value_kind:     global_buffer
      - .offset:         56
        .size:           8
        .value_kind:     by_value
      - .address_space:  global
        .offset:         64
        .size:           8
        .value_kind:     global_buffer
      - .offset:         72
        .size:           8
        .value_kind:     by_value
      - .offset:         80
        .size:           8
        .value_kind:     by_value
      - .offset:         88
        .size:           8
        .value_kind:     by_value
    .group_segment_fixed_size: 16416
    .kernarg_segment_align: 8
    .kernarg_segment_size: 96
    .language:       OpenCL C
    .language_version:
      - 2
      - 0
    .max_flat_workgroup_size: 256
    .name:           _ZN9rocsolver6v33100L23larf_right_kernel_smallILi256E19rocblas_complex_numIfElPS3_EEvT1_S5_T2_lS5_lPKT0_lS6_lS5_l
    .private_segment_fixed_size: 0
    .sgpr_count:     42
    .sgpr_spill_count: 0
    .symbol:         _ZN9rocsolver6v33100L23larf_right_kernel_smallILi256E19rocblas_complex_numIfElPS3_EEvT1_S5_T2_lS5_lPKT0_lS6_lS5_l.kd
    .uniform_work_group_size: 1
    .uses_dynamic_stack: false
    .vgpr_count:     32
    .vgpr_spill_count: 0
    .wavefront_size: 64
  - .agpr_count:     0
    .args:
      - .offset:         0
        .size:           8
        .value_kind:     by_value
      - .offset:         8
        .size:           8
        .value_kind:     by_value
      - .address_space:  global
        .offset:         16
        .size:           8
        .value_kind:     global_buffer
      - .offset:         24
        .size:           8
        .value_kind:     by_value
      - .offset:         32
        .size:           8
        .value_kind:     by_value
      - .offset:         40
        .size:           8
        .value_kind:     by_value
      - .address_space:  global
        .offset:         48
        .size:           8
        .value_kind:     global_buffer
      - .offset:         56
        .size:           8
        .value_kind:     by_value
      - .address_space:  global
        .offset:         64
        .size:           8
        .value_kind:     global_buffer
      - .offset:         72
        .size:           8
        .value_kind:     by_value
      - .offset:         80
        .size:           8
        .value_kind:     by_value
      - .offset:         88
        .size:           8
        .value_kind:     by_value
    .group_segment_fixed_size: 16448
    .kernarg_segment_align: 8
    .kernarg_segment_size: 96
    .language:       OpenCL C
    .language_version:
      - 2
      - 0
    .max_flat_workgroup_size: 512
    .name:           _ZN9rocsolver6v33100L23larf_right_kernel_smallILi512E19rocblas_complex_numIfElPS3_EEvT1_S5_T2_lS5_lPKT0_lS6_lS5_l
    .private_segment_fixed_size: 0
    .sgpr_count:     38
    .sgpr_spill_count: 0
    .symbol:         _ZN9rocsolver6v33100L23larf_right_kernel_smallILi512E19rocblas_complex_numIfElPS3_EEvT1_S5_T2_lS5_lPKT0_lS6_lS5_l.kd
    .uniform_work_group_size: 1
    .uses_dynamic_stack: false
    .vgpr_count:     36
    .vgpr_spill_count: 0
    .wavefront_size: 64
  - .agpr_count:     0
    .args:
      - .offset:         0
        .size:           8
        .value_kind:     by_value
      - .offset:         8
        .size:           8
        .value_kind:     by_value
      - .address_space:  global
        .offset:         16
        .size:           8
        .value_kind:     global_buffer
      - .offset:         24
        .size:           8
        .value_kind:     by_value
      - .offset:         32
        .size:           8
        .value_kind:     by_value
      - .offset:         40
        .size:           8
        .value_kind:     by_value
      - .address_space:  global
        .offset:         48
        .size:           8
        .value_kind:     global_buffer
      - .offset:         56
        .size:           8
        .value_kind:     by_value
      - .address_space:  global
        .offset:         64
        .size:           8
        .value_kind:     global_buffer
      - .offset:         72
        .size:           8
        .value_kind:     by_value
      - .offset:         80
        .size:           8
        .value_kind:     by_value
      - .offset:         88
        .size:           8
        .value_kind:     by_value
    .group_segment_fixed_size: 16512
    .kernarg_segment_align: 8
    .kernarg_segment_size: 96
    .language:       OpenCL C
    .language_version:
      - 2
      - 0
    .max_flat_workgroup_size: 1024
    .name:           _ZN9rocsolver6v33100L23larf_right_kernel_smallILi1024E19rocblas_complex_numIfElPS3_EEvT1_S5_T2_lS5_lPKT0_lS6_lS5_l
    .private_segment_fixed_size: 0
    .sgpr_count:     42
    .sgpr_spill_count: 0
    .symbol:         _ZN9rocsolver6v33100L23larf_right_kernel_smallILi1024E19rocblas_complex_numIfElPS3_EEvT1_S5_T2_lS5_lPKT0_lS6_lS5_l.kd
    .uniform_work_group_size: 1
    .uses_dynamic_stack: false
    .vgpr_count:     40
    .vgpr_spill_count: 0
    .wavefront_size: 64
  - .agpr_count:     0
    .args:
      - .offset:         0
        .size:           8
        .value_kind:     by_value
      - .offset:         8
        .size:           8
        .value_kind:     by_value
      - .address_space:  global
        .offset:         16
        .size:           8
        .value_kind:     global_buffer
      - .offset:         24
        .size:           8
        .value_kind:     by_value
      - .offset:         32
        .size:           8
        .value_kind:     by_value
      - .offset:         40
        .size:           8
        .value_kind:     by_value
      - .address_space:  global
        .offset:         48
        .size:           8
        .value_kind:     global_buffer
      - .offset:         56
        .size:           8
        .value_kind:     by_value
      - .address_space:  global
        .offset:         64
        .size:           8
        .value_kind:     global_buffer
      - .offset:         72
        .size:           8
        .value_kind:     by_value
      - .offset:         80
        .size:           8
        .value_kind:     by_value
      - .offset:         88
        .size:           8
        .value_kind:     by_value
    .group_segment_fixed_size: 16896
    .kernarg_segment_align: 8
    .kernarg_segment_size: 96
    .language:       OpenCL C
    .language_version:
      - 2
      - 0
    .max_flat_workgroup_size: 64
    .name:           _ZN9rocsolver6v33100L22larf_left_kernel_smallILi64E19rocblas_complex_numIfElPKPS3_EEvT1_S7_T2_lS7_lPKT0_lS8_lS7_l
    .private_segment_fixed_size: 0
    .sgpr_count:     52
    .sgpr_spill_count: 0
    .symbol:         _ZN9rocsolver6v33100L22larf_left_kernel_smallILi64E19rocblas_complex_numIfElPKPS3_EEvT1_S7_T2_lS7_lPKT0_lS8_lS7_l.kd
    .uniform_work_group_size: 1
    .uses_dynamic_stack: false
    .vgpr_count:     52
    .vgpr_spill_count: 0
    .wavefront_size: 64
  - .agpr_count:     0
    .args:
      - .offset:         0
        .size:           8
        .value_kind:     by_value
      - .offset:         8
        .size:           8
        .value_kind:     by_value
      - .address_space:  global
        .offset:         16
        .size:           8
        .value_kind:     global_buffer
      - .offset:         24
        .size:           8
        .value_kind:     by_value
      - .offset:         32
        .size:           8
        .value_kind:     by_value
      - .offset:         40
        .size:           8
        .value_kind:     by_value
      - .address_space:  global
        .offset:         48
        .size:           8
        .value_kind:     global_buffer
      - .offset:         56
        .size:           8
        .value_kind:     by_value
      - .address_space:  global
        .offset:         64
        .size:           8
        .value_kind:     global_buffer
      - .offset:         72
        .size:           8
        .value_kind:     by_value
      - .offset:         80
        .size:           8
        .value_kind:     by_value
      - .offset:         88
        .size:           8
        .value_kind:     by_value
    .group_segment_fixed_size: 17408
    .kernarg_segment_align: 8
    .kernarg_segment_size: 96
    .language:       OpenCL C
    .language_version:
      - 2
      - 0
    .max_flat_workgroup_size: 128
    .name:           _ZN9rocsolver6v33100L22larf_left_kernel_smallILi128E19rocblas_complex_numIfElPKPS3_EEvT1_S7_T2_lS7_lPKT0_lS8_lS7_l
    .private_segment_fixed_size: 0
    .sgpr_count:     56
    .sgpr_spill_count: 0
    .symbol:         _ZN9rocsolver6v33100L22larf_left_kernel_smallILi128E19rocblas_complex_numIfElPKPS3_EEvT1_S7_T2_lS7_lPKT0_lS8_lS7_l.kd
    .uniform_work_group_size: 1
    .uses_dynamic_stack: false
    .vgpr_count:     52
    .vgpr_spill_count: 0
    .wavefront_size: 64
  - .agpr_count:     0
    .args:
      - .offset:         0
        .size:           8
        .value_kind:     by_value
      - .offset:         8
        .size:           8
        .value_kind:     by_value
      - .address_space:  global
        .offset:         16
        .size:           8
        .value_kind:     global_buffer
      - .offset:         24
        .size:           8
        .value_kind:     by_value
      - .offset:         32
        .size:           8
        .value_kind:     by_value
      - .offset:         40
        .size:           8
        .value_kind:     by_value
      - .address_space:  global
        .offset:         48
        .size:           8
        .value_kind:     global_buffer
      - .offset:         56
        .size:           8
        .value_kind:     by_value
      - .address_space:  global
        .offset:         64
        .size:           8
        .value_kind:     global_buffer
      - .offset:         72
        .size:           8
        .value_kind:     by_value
      - .offset:         80
        .size:           8
        .value_kind:     by_value
      - .offset:         88
        .size:           8
        .value_kind:     by_value
    .group_segment_fixed_size: 18432
    .kernarg_segment_align: 8
    .kernarg_segment_size: 96
    .language:       OpenCL C
    .language_version:
      - 2
      - 0
    .max_flat_workgroup_size: 256
    .name:           _ZN9rocsolver6v33100L22larf_left_kernel_smallILi256E19rocblas_complex_numIfElPKPS3_EEvT1_S7_T2_lS7_lPKT0_lS8_lS7_l
    .private_segment_fixed_size: 0
    .sgpr_count:     56
    .sgpr_spill_count: 0
    .symbol:         _ZN9rocsolver6v33100L22larf_left_kernel_smallILi256E19rocblas_complex_numIfElPKPS3_EEvT1_S7_T2_lS7_lPKT0_lS8_lS7_l.kd
    .uniform_work_group_size: 1
    .uses_dynamic_stack: false
    .vgpr_count:     52
    .vgpr_spill_count: 0
    .wavefront_size: 64
  - .agpr_count:     0
    .args:
      - .offset:         0
        .size:           8
        .value_kind:     by_value
      - .offset:         8
        .size:           8
        .value_kind:     by_value
      - .address_space:  global
        .offset:         16
        .size:           8
        .value_kind:     global_buffer
      - .offset:         24
        .size:           8
        .value_kind:     by_value
      - .offset:         32
        .size:           8
        .value_kind:     by_value
      - .offset:         40
        .size:           8
        .value_kind:     by_value
      - .address_space:  global
        .offset:         48
        .size:           8
        .value_kind:     global_buffer
      - .offset:         56
        .size:           8
        .value_kind:     by_value
      - .address_space:  global
        .offset:         64
        .size:           8
        .value_kind:     global_buffer
      - .offset:         72
        .size:           8
        .value_kind:     by_value
      - .offset:         80
        .size:           8
        .value_kind:     by_value
      - .offset:         88
        .size:           8
        .value_kind:     by_value
    .group_segment_fixed_size: 20480
    .kernarg_segment_align: 8
    .kernarg_segment_size: 96
    .language:       OpenCL C
    .language_version:
      - 2
      - 0
    .max_flat_workgroup_size: 512
    .name:           _ZN9rocsolver6v33100L22larf_left_kernel_smallILi512E19rocblas_complex_numIfElPKPS3_EEvT1_S7_T2_lS7_lPKT0_lS8_lS7_l
    .private_segment_fixed_size: 0
    .sgpr_count:     56
    .sgpr_spill_count: 0
    .symbol:         _ZN9rocsolver6v33100L22larf_left_kernel_smallILi512E19rocblas_complex_numIfElPKPS3_EEvT1_S7_T2_lS7_lPKT0_lS8_lS7_l.kd
    .uniform_work_group_size: 1
    .uses_dynamic_stack: false
    .vgpr_count:     58
    .vgpr_spill_count: 0
    .wavefront_size: 64
  - .agpr_count:     0
    .args:
      - .offset:         0
        .size:           8
        .value_kind:     by_value
      - .offset:         8
        .size:           8
        .value_kind:     by_value
      - .address_space:  global
        .offset:         16
        .size:           8
        .value_kind:     global_buffer
      - .offset:         24
        .size:           8
        .value_kind:     by_value
      - .offset:         32
        .size:           8
        .value_kind:     by_value
      - .offset:         40
        .size:           8
        .value_kind:     by_value
      - .address_space:  global
        .offset:         48
        .size:           8
        .value_kind:     global_buffer
      - .offset:         56
        .size:           8
        .value_kind:     by_value
      - .address_space:  global
        .offset:         64
        .size:           8
        .value_kind:     global_buffer
      - .offset:         72
        .size:           8
        .value_kind:     by_value
      - .offset:         80
        .size:           8
        .value_kind:     by_value
      - .offset:         88
        .size:           8
        .value_kind:     by_value
    .group_segment_fixed_size: 24576
    .kernarg_segment_align: 8
    .kernarg_segment_size: 96
    .language:       OpenCL C
    .language_version:
      - 2
      - 0
    .max_flat_workgroup_size: 1024
    .name:           _ZN9rocsolver6v33100L22larf_left_kernel_smallILi1024E19rocblas_complex_numIfElPKPS3_EEvT1_S7_T2_lS7_lPKT0_lS8_lS7_l
    .private_segment_fixed_size: 0
    .sgpr_count:     58
    .sgpr_spill_count: 0
    .symbol:         _ZN9rocsolver6v33100L22larf_left_kernel_smallILi1024E19rocblas_complex_numIfElPKPS3_EEvT1_S7_T2_lS7_lPKT0_lS8_lS7_l.kd
    .uniform_work_group_size: 1
    .uses_dynamic_stack: false
    .vgpr_count:     56
    .vgpr_spill_count: 0
    .wavefront_size: 64
  - .agpr_count:     0
    .args:
      - .offset:         0
        .size:           8
        .value_kind:     by_value
      - .offset:         8
        .size:           8
        .value_kind:     by_value
      - .address_space:  global
        .offset:         16
        .size:           8
        .value_kind:     global_buffer
      - .offset:         24
        .size:           8
        .value_kind:     by_value
      - .offset:         32
        .size:           8
        .value_kind:     by_value
      - .offset:         40
        .size:           8
        .value_kind:     by_value
      - .address_space:  global
        .offset:         48
        .size:           8
        .value_kind:     global_buffer
      - .offset:         56
        .size:           8
        .value_kind:     by_value
      - .address_space:  global
        .offset:         64
        .size:           8
        .value_kind:     global_buffer
      - .offset:         72
        .size:           8
        .value_kind:     by_value
      - .offset:         80
        .size:           8
        .value_kind:     by_value
      - .offset:         88
        .size:           8
        .value_kind:     by_value
    .group_segment_fixed_size: 16392
    .kernarg_segment_align: 8
    .kernarg_segment_size: 96
    .language:       OpenCL C
    .language_version:
      - 2
      - 0
    .max_flat_workgroup_size: 64
    .name:           _ZN9rocsolver6v33100L23larf_right_kernel_smallILi64E19rocblas_complex_numIfElPKPS3_EEvT1_S7_T2_lS7_lPKT0_lS8_lS7_l
    .private_segment_fixed_size: 0
    .sgpr_count:     38
    .sgpr_spill_count: 0
    .symbol:         _ZN9rocsolver6v33100L23larf_right_kernel_smallILi64E19rocblas_complex_numIfElPKPS3_EEvT1_S7_T2_lS7_lPKT0_lS8_lS7_l.kd
    .uniform_work_group_size: 1
    .uses_dynamic_stack: false
    .vgpr_count:     30
    .vgpr_spill_count: 0
    .wavefront_size: 64
  - .agpr_count:     0
    .args:
      - .offset:         0
        .size:           8
        .value_kind:     by_value
      - .offset:         8
        .size:           8
        .value_kind:     by_value
      - .address_space:  global
        .offset:         16
        .size:           8
        .value_kind:     global_buffer
      - .offset:         24
        .size:           8
        .value_kind:     by_value
      - .offset:         32
        .size:           8
        .value_kind:     by_value
      - .offset:         40
        .size:           8
        .value_kind:     by_value
      - .address_space:  global
        .offset:         48
        .size:           8
        .value_kind:     global_buffer
      - .offset:         56
        .size:           8
        .value_kind:     by_value
      - .address_space:  global
        .offset:         64
        .size:           8
        .value_kind:     global_buffer
      - .offset:         72
        .size:           8
        .value_kind:     by_value
      - .offset:         80
        .size:           8
        .value_kind:     by_value
      - .offset:         88
        .size:           8
        .value_kind:     by_value
    .group_segment_fixed_size: 16400
    .kernarg_segment_align: 8
    .kernarg_segment_size: 96
    .language:       OpenCL C
    .language_version:
      - 2
      - 0
    .max_flat_workgroup_size: 128
    .name:           _ZN9rocsolver6v33100L23larf_right_kernel_smallILi128E19rocblas_complex_numIfElPKPS3_EEvT1_S7_T2_lS7_lPKT0_lS8_lS7_l
    .private_segment_fixed_size: 0
    .sgpr_count:     38
    .sgpr_spill_count: 0
    .symbol:         _ZN9rocsolver6v33100L23larf_right_kernel_smallILi128E19rocblas_complex_numIfElPKPS3_EEvT1_S7_T2_lS7_lPKT0_lS8_lS7_l.kd
    .uniform_work_group_size: 1
    .uses_dynamic_stack: false
    .vgpr_count:     30
    .vgpr_spill_count: 0
    .wavefront_size: 64
  - .agpr_count:     0
    .args:
      - .offset:         0
        .size:           8
        .value_kind:     by_value
      - .offset:         8
        .size:           8
        .value_kind:     by_value
      - .address_space:  global
        .offset:         16
        .size:           8
        .value_kind:     global_buffer
      - .offset:         24
        .size:           8
        .value_kind:     by_value
      - .offset:         32
        .size:           8
        .value_kind:     by_value
      - .offset:         40
        .size:           8
        .value_kind:     by_value
      - .address_space:  global
        .offset:         48
        .size:           8
        .value_kind:     global_buffer
      - .offset:         56
        .size:           8
        .value_kind:     by_value
      - .address_space:  global
        .offset:         64
        .size:           8
        .value_kind:     global_buffer
      - .offset:         72
        .size:           8
        .value_kind:     by_value
      - .offset:         80
        .size:           8
        .value_kind:     by_value
      - .offset:         88
        .size:           8
        .value_kind:     by_value
    .group_segment_fixed_size: 16416
    .kernarg_segment_align: 8
    .kernarg_segment_size: 96
    .language:       OpenCL C
    .language_version:
      - 2
      - 0
    .max_flat_workgroup_size: 256
    .name:           _ZN9rocsolver6v33100L23larf_right_kernel_smallILi256E19rocblas_complex_numIfElPKPS3_EEvT1_S7_T2_lS7_lPKT0_lS8_lS7_l
    .private_segment_fixed_size: 0
    .sgpr_count:     38
    .sgpr_spill_count: 0
    .symbol:         _ZN9rocsolver6v33100L23larf_right_kernel_smallILi256E19rocblas_complex_numIfElPKPS3_EEvT1_S7_T2_lS7_lPKT0_lS8_lS7_l.kd
    .uniform_work_group_size: 1
    .uses_dynamic_stack: false
    .vgpr_count:     32
    .vgpr_spill_count: 0
    .wavefront_size: 64
  - .agpr_count:     0
    .args:
      - .offset:         0
        .size:           8
        .value_kind:     by_value
      - .offset:         8
        .size:           8
        .value_kind:     by_value
      - .address_space:  global
        .offset:         16
        .size:           8
        .value_kind:     global_buffer
      - .offset:         24
        .size:           8
        .value_kind:     by_value
      - .offset:         32
        .size:           8
        .value_kind:     by_value
      - .offset:         40
        .size:           8
        .value_kind:     by_value
      - .address_space:  global
        .offset:         48
        .size:           8
        .value_kind:     global_buffer
      - .offset:         56
        .size:           8
        .value_kind:     by_value
      - .address_space:  global
        .offset:         64
        .size:           8
        .value_kind:     global_buffer
      - .offset:         72
        .size:           8
        .value_kind:     by_value
      - .offset:         80
        .size:           8
        .value_kind:     by_value
      - .offset:         88
        .size:           8
        .value_kind:     by_value
    .group_segment_fixed_size: 16448
    .kernarg_segment_align: 8
    .kernarg_segment_size: 96
    .language:       OpenCL C
    .language_version:
      - 2
      - 0
    .max_flat_workgroup_size: 512
    .name:           _ZN9rocsolver6v33100L23larf_right_kernel_smallILi512E19rocblas_complex_numIfElPKPS3_EEvT1_S7_T2_lS7_lPKT0_lS8_lS7_l
    .private_segment_fixed_size: 0
    .sgpr_count:     38
    .sgpr_spill_count: 0
    .symbol:         _ZN9rocsolver6v33100L23larf_right_kernel_smallILi512E19rocblas_complex_numIfElPKPS3_EEvT1_S7_T2_lS7_lPKT0_lS8_lS7_l.kd
    .uniform_work_group_size: 1
    .uses_dynamic_stack: false
    .vgpr_count:     36
    .vgpr_spill_count: 0
    .wavefront_size: 64
  - .agpr_count:     0
    .args:
      - .offset:         0
        .size:           8
        .value_kind:     by_value
      - .offset:         8
        .size:           8
        .value_kind:     by_value
      - .address_space:  global
        .offset:         16
        .size:           8
        .value_kind:     global_buffer
      - .offset:         24
        .size:           8
        .value_kind:     by_value
      - .offset:         32
        .size:           8
        .value_kind:     by_value
      - .offset:         40
        .size:           8
        .value_kind:     by_value
      - .address_space:  global
        .offset:         48
        .size:           8
        .value_kind:     global_buffer
      - .offset:         56
        .size:           8
        .value_kind:     by_value
      - .address_space:  global
        .offset:         64
        .size:           8
        .value_kind:     global_buffer
      - .offset:         72
        .size:           8
        .value_kind:     by_value
      - .offset:         80
        .size:           8
        .value_kind:     by_value
      - .offset:         88
        .size:           8
        .value_kind:     by_value
    .group_segment_fixed_size: 16512
    .kernarg_segment_align: 8
    .kernarg_segment_size: 96
    .language:       OpenCL C
    .language_version:
      - 2
      - 0
    .max_flat_workgroup_size: 1024
    .name:           _ZN9rocsolver6v33100L23larf_right_kernel_smallILi1024E19rocblas_complex_numIfElPKPS3_EEvT1_S7_T2_lS7_lPKT0_lS8_lS7_l
    .private_segment_fixed_size: 0
    .sgpr_count:     38
    .sgpr_spill_count: 0
    .symbol:         _ZN9rocsolver6v33100L23larf_right_kernel_smallILi1024E19rocblas_complex_numIfElPKPS3_EEvT1_S7_T2_lS7_lPKT0_lS8_lS7_l.kd
    .uniform_work_group_size: 1
    .uses_dynamic_stack: false
    .vgpr_count:     40
    .vgpr_spill_count: 0
    .wavefront_size: 64
amdhsa.target:   amdgcn-amd-amdhsa--gfx950
amdhsa.version:
  - 1
  - 2
...

	.end_amdgpu_metadata
